;; amdgpu-corpus repo=ROCm/rocFFT kind=compiled arch=gfx1201 opt=O3
	.text
	.amdgcn_target "amdgcn-amd-amdhsa--gfx1201"
	.amdhsa_code_object_version 6
	.protected	bluestein_single_back_len1625_dim1_half_op_CI_CI ; -- Begin function bluestein_single_back_len1625_dim1_half_op_CI_CI
	.globl	bluestein_single_back_len1625_dim1_half_op_CI_CI
	.p2align	8
	.type	bluestein_single_back_len1625_dim1_half_op_CI_CI,@function
bluestein_single_back_len1625_dim1_half_op_CI_CI: ; @bluestein_single_back_len1625_dim1_half_op_CI_CI
; %bb.0:
	s_load_b128 s[12:15], s[0:1], 0x28
	v_mul_u32_u24_e32 v1, 0x3f1, v0
	v_mov_b32_e32 v6, 0
	s_mov_b32 s2, exec_lo
	s_delay_alu instid0(VALU_DEP_2) | instskip(NEXT) | instid1(VALU_DEP_1)
	v_lshrrev_b32_e32 v2, 16, v1
	v_lshl_add_u32 v5, ttmp9, 1, v2
	s_wait_kmcnt 0x0
	s_delay_alu instid0(VALU_DEP_1)
	v_cmpx_gt_u64_e64 s[12:13], v[5:6]
	s_cbranch_execz .LBB0_15
; %bb.1:
	s_clause 0x1
	s_load_b128 s[4:7], s[0:1], 0x18
	s_load_b64 s[12:13], s[0:1], 0x0
	v_mul_lo_u16 v1, 0x41, v2
	s_delay_alu instid0(VALU_DEP_1) | instskip(NEXT) | instid1(VALU_DEP_1)
	v_sub_nc_u16 v8, v0, v1
	v_and_b32_e32 v252, 0xffff, v8
	v_mov_b32_e32 v6, v5
	scratch_store_b64 off, v[6:7], off      ; 8-byte Folded Spill
	s_wait_kmcnt 0x0
	s_load_b128 s[8:11], s[4:5], 0x0
	s_wait_kmcnt 0x0
	v_mad_co_u64_u32 v[0:1], null, s10, v5, 0
	v_mad_co_u64_u32 v[3:4], null, s8, v252, 0
	s_mul_u64 s[2:3], s[8:9], 0x7d
	s_delay_alu instid0(VALU_DEP_2) | instskip(NEXT) | instid1(VALU_DEP_2)
	v_mad_co_u64_u32 v[5:6], null, s11, v5, v[1:2]
	v_mov_b32_e32 v1, v4
	v_lshlrev_b32_e32 v71, 2, v252
	s_clause 0x7
	global_load_b32 v108, v71, s[12:13]
	global_load_b32 v106, v71, s[12:13] offset:500
	global_load_b32 v104, v71, s[12:13] offset:1000
	;; [unrolled: 1-line block ×7, first 2 shown]
	v_mad_co_u64_u32 v[6:7], null, s9, v252, v[1:2]
	v_mov_b32_e32 v1, v5
	s_clause 0x3
	global_load_b32 v92, v71, s[12:13] offset:4000
	global_load_b32 v90, v71, s[12:13] offset:4500
	;; [unrolled: 1-line block ×4, first 2 shown]
	v_and_b32_e32 v2, 1, v2
	v_mov_b32_e32 v4, v6
	v_lshlrev_b64_e32 v[0:1], 2, v[0:1]
	s_delay_alu instid0(VALU_DEP_2) | instskip(NEXT) | instid1(VALU_DEP_2)
	v_lshlrev_b64_e32 v[3:4], 2, v[3:4]
	v_add_co_u32 v0, vcc_lo, s14, v0
	s_delay_alu instid0(VALU_DEP_3) | instskip(SKIP_1) | instid1(VALU_DEP_2)
	v_add_co_ci_u32_e32 v1, vcc_lo, s15, v1, vcc_lo
	s_lshl_b64 s[14:15], s[2:3], 2
	v_add_co_u32 v0, vcc_lo, v0, v3
	s_wait_alu 0xfffd
	s_delay_alu instid0(VALU_DEP_2)
	v_add_co_ci_u32_e32 v1, vcc_lo, v1, v4, vcc_lo
	v_add_co_u32 v56, s2, s12, v71
	s_wait_alu 0xfffe
	v_add_co_u32 v3, vcc_lo, v0, s14
	s_wait_alu 0xfffd
	v_add_co_ci_u32_e32 v4, vcc_lo, s15, v1, vcc_lo
	global_load_b32 v5, v[0:1], off
	v_add_co_u32 v0, vcc_lo, v3, s14
	s_wait_alu 0xfffd
	v_add_co_ci_u32_e32 v1, vcc_lo, s15, v4, vcc_lo
	global_load_b32 v6, v[3:4], off
	global_load_b32 v84, v71, s[12:13] offset:6000
	global_load_b32 v7, v[0:1], off
	v_add_co_u32 v0, vcc_lo, v0, s14
	s_wait_alu 0xfffd
	v_add_co_ci_u32_e32 v1, vcc_lo, s15, v1, vcc_lo
	v_add_co_ci_u32_e64 v57, null, s13, 0, s2
	s_delay_alu instid0(VALU_DEP_3) | instskip(SKIP_1) | instid1(VALU_DEP_3)
	v_add_co_u32 v3, vcc_lo, v0, s14
	s_wait_alu 0xfffd
	v_add_co_ci_u32_e32 v4, vcc_lo, s15, v1, vcc_lo
	global_load_b32 v9, v[0:1], off
	v_add_co_u32 v0, vcc_lo, v3, s14
	s_wait_alu 0xfffd
	v_add_co_ci_u32_e32 v1, vcc_lo, s15, v4, vcc_lo
	global_load_b32 v10, v[3:4], off
	global_load_b32 v11, v[0:1], off
	v_add_co_u32 v0, vcc_lo, v0, s14
	s_wait_alu 0xfffd
	v_add_co_ci_u32_e32 v1, vcc_lo, s15, v1, vcc_lo
	s_delay_alu instid0(VALU_DEP_2) | instskip(SKIP_1) | instid1(VALU_DEP_2)
	v_add_co_u32 v3, vcc_lo, v0, s14
	s_wait_alu 0xfffd
	v_add_co_ci_u32_e32 v4, vcc_lo, s15, v1, vcc_lo
	global_load_b32 v12, v[0:1], off
	global_load_b32 v13, v[3:4], off
	v_add_co_u32 v0, vcc_lo, v3, s14
	s_wait_alu 0xfffd
	v_add_co_ci_u32_e32 v1, vcc_lo, s15, v4, vcc_lo
	s_delay_alu instid0(VALU_DEP_2) | instskip(SKIP_1) | instid1(VALU_DEP_2)
	v_add_co_u32 v3, vcc_lo, v0, s14
	s_wait_alu 0xfffd
	v_add_co_ci_u32_e32 v4, vcc_lo, s15, v1, vcc_lo
	global_load_b32 v14, v[0:1], off
	v_add_co_u32 v0, vcc_lo, v3, s14
	s_wait_alu 0xfffd
	v_add_co_ci_u32_e32 v1, vcc_lo, s15, v4, vcc_lo
	global_load_b32 v15, v[3:4], off
	;; [unrolled: 4-line block ×4, first 2 shown]
	global_load_b32 v18, v[0:1], off
	v_cmp_eq_u32_e32 vcc_lo, 1, v2
	s_load_b64 s[10:11], s[0:1], 0x38
	s_load_b128 s[4:7], s[6:7], 0x0
	v_cndmask_b32_e64 v2, 0, 0x659, vcc_lo
	v_cmp_gt_u16_e32 vcc_lo, 60, v8
	s_delay_alu instid0(VALU_DEP_2) | instskip(NEXT) | instid1(VALU_DEP_1)
	v_lshlrev_b32_e32 v87, 2, v2
	v_add_nc_u32_e32 v83, v87, v71
	s_delay_alu instid0(VALU_DEP_1)
	v_add_nc_u32_e32 v2, 0x200, v83
	v_add_nc_u32_e32 v3, 0x600, v83
	;; [unrolled: 1-line block ×3, first 2 shown]
	s_wait_loadcnt 0x19
	v_lshrrev_b32_e32 v21, 16, v108
	s_wait_loadcnt 0x18
	v_lshrrev_b32_e32 v24, 16, v106
	;; [unrolled: 2-line block ×12, first 2 shown]
	s_clause 0x1
	scratch_store_b32 off, v25, off offset:12
	scratch_store_b32 off, v26, off offset:8
	s_wait_loadcnt 0xd
	v_lshrrev_b32_e32 v19, 16, v5
	v_mul_f16_e32 v20, v21, v5
	s_wait_loadcnt 0xc
	v_lshrrev_b32_e32 v22, 16, v6
	s_delay_alu instid0(VALU_DEP_3)
	v_mul_f16_e32 v21, v21, v19
	v_mul_f16_e32 v23, v24, v6
	v_fma_f16 v19, v108, v19, -v20
	s_wait_loadcnt 0xa
	v_lshrrev_b32_e32 v20, 16, v7
	v_lshrrev_b32_e32 v247, 16, v84
	v_fmac_f16_e32 v21, v108, v5
	v_mul_f16_e32 v5, v24, v22
	v_fma_f16 v22, v106, v22, -v23
	v_mul_f16_e64 v23, v255, v7
	s_delay_alu instid0(VALU_DEP_4) | instskip(NEXT) | instid1(VALU_DEP_4)
	v_pack_b32_f16 v19, v21, v19
	v_fmac_f16_e32 v5, v106, v6
	v_mul_f16_e64 v6, v255, v20
	s_wait_loadcnt 0x9
	v_lshrrev_b32_e32 v21, 16, v9
	v_mul_f16_e64 v24, v254, v9
	v_fma_f16 v20, v104, v20, -v23
	v_pack_b32_f16 v5, v5, v22
	v_fmac_f16_e32 v6, v104, v7
	v_mul_f16_e64 v7, v254, v21
	s_wait_loadcnt 0x8
	v_lshrrev_b32_e32 v22, 16, v10
	v_fma_f16 v21, v101, v21, -v24
	v_mul_f16_e32 v23, v25, v10
	ds_store_2addr_b32 v83, v19, v5 offset1:125
	v_pack_b32_f16 v5, v6, v20
	v_fmac_f16_e32 v7, v101, v9
	v_mul_f16_e32 v6, v25, v22
	s_wait_loadcnt 0x7
	v_lshrrev_b32_e32 v9, 16, v11
	v_mul_f16_e32 v19, v26, v11
	v_fma_f16 v20, v99, v22, -v23
	v_pack_b32_f16 v7, v7, v21
	v_fmac_f16_e32 v6, v99, v10
	v_mul_f16_e32 v10, v26, v9
	v_fma_f16 v9, v97, v9, -v19
	s_wait_loadcnt 0x6
	v_lshrrev_b32_e32 v19, 16, v12
	v_mul_f16_e64 v21, v251, v12
	ds_store_2addr_b32 v2, v5, v7 offset0:122 offset1:247
	v_pack_b32_f16 v5, v6, v20
	v_fmac_f16_e32 v10, v97, v11
	v_mul_f16_e64 v6, v251, v19
	s_wait_loadcnt 0x5
	v_lshrrev_b32_e32 v7, 16, v13
	v_mul_f16_e64 v11, v250, v13
	v_fma_f16 v19, v95, v19, -v21
	v_pack_b32_f16 v9, v10, v9
	v_fmac_f16_e32 v6, v95, v12
	v_mul_f16_e64 v10, v250, v7
	v_fma_f16 v7, v94, v7, -v11
	s_wait_loadcnt 0x4
	v_lshrrev_b32_e32 v11, 16, v14
	v_mul_f16_e64 v12, v249, v14
	ds_store_2addr_b32 v3, v5, v9 offset0:116 offset1:241
	v_pack_b32_f16 v9, v6, v19
	v_fmac_f16_e32 v10, v94, v13
	v_mul_f16_e64 v5, v249, v11
	s_wait_loadcnt 0x3
	v_lshrrev_b32_e32 v6, 16, v15
	v_fma_f16 v11, v92, v11, -v12
	v_mul_f16_e64 v12, v248, v15
	v_pack_b32_f16 v7, v10, v7
	v_fmac_f16_e32 v5, v92, v14
	v_mul_f16_e64 v10, v248, v6
	s_wait_loadcnt 0x2
	v_lshrrev_b32_e32 v13, 16, v16
	v_fma_f16 v6, v90, v6, -v12
	v_mul_f16_e32 v12, v110, v16
	v_pack_b32_f16 v11, v5, v11
	v_fmac_f16_e32 v10, v90, v15
	s_wait_loadcnt 0x1
	v_lshrrev_b32_e32 v5, 16, v17
	s_wait_loadcnt 0x0
	v_lshrrev_b32_e32 v15, 16, v18
	v_mul_f16_e32 v14, v110, v13
	v_fma_f16 v12, v88, v13, -v12
	v_mul_f16_e32 v13, v109, v17
	v_pack_b32_f16 v10, v10, v6
	v_mul_f16_e32 v6, v109, v5
	v_mul_f16_e64 v19, v247, v15
	v_mul_f16_e64 v20, v247, v18
	v_fma_f16 v13, v85, v5, -v13
	v_fmac_f16_e32 v14, v88, v16
	v_fmac_f16_e32 v6, v85, v17
	;; [unrolled: 1-line block ×3, first 2 shown]
	v_fma_f16 v15, v84, v15, -v20
	v_add_nc_u32_e32 v5, 0xe00, v83
	v_pack_b32_f16 v12, v14, v12
	v_pack_b32_f16 v13, v6, v13
	v_add_nc_u32_e32 v6, 0x1200, v83
	v_pack_b32_f16 v14, v19, v15
	ds_store_2addr_b32 v4, v9, v7 offset0:110 offset1:235
	ds_store_2addr_b32 v5, v11, v10 offset0:104 offset1:229
	;; [unrolled: 1-line block ×3, first 2 shown]
	ds_store_b32 v83, v14 offset:6000
	s_and_saveexec_b32 s3, vcc_lo
	s_cbranch_execz .LBB0_3
; %bb.2:
	v_mad_co_u64_u32 v[0:1], null, 0xffffe994, s8, v[0:1]
	s_mul_i32 s2, s9, 0xffffe994
	v_add_nc_u32_e32 v33, 0xc00, v83
	s_wait_alu 0xfffe
	s_sub_co_i32 s2, s2, s8
	s_wait_alu 0xfffe
	s_delay_alu instid0(VALU_DEP_2) | instskip(NEXT) | instid1(VALU_DEP_3)
	v_add_nc_u32_e32 v1, s2, v1
	v_add_co_u32 v7, s2, v0, s14
	s_wait_alu 0xf1ff
	s_delay_alu instid0(VALU_DEP_2)
	v_add_co_ci_u32_e64 v8, s2, s15, v1, s2
	s_clause 0x7
	global_load_b32 v9, v[56:57], off offset:260
	global_load_b32 v10, v[56:57], off offset:760
	;; [unrolled: 1-line block ×8, first 2 shown]
	global_load_b32 v17, v[0:1], off
	global_load_b32 v18, v[7:8], off
	s_clause 0x3
	global_load_b32 v19, v[56:57], off offset:4260
	global_load_b32 v20, v[56:57], off offset:4760
	;; [unrolled: 1-line block ×4, first 2 shown]
	v_add_co_u32 v0, s2, v7, s14
	s_wait_alu 0xf1ff
	v_add_co_ci_u32_e64 v1, s2, s15, v8, s2
	global_load_b32 v23, v[56:57], off offset:6260
	v_add_co_u32 v7, s2, v0, s14
	s_wait_alu 0xf1ff
	v_add_co_ci_u32_e64 v8, s2, s15, v1, s2
	global_load_b32 v24, v[0:1], off
	v_add_co_u32 v0, s2, v7, s14
	s_wait_alu 0xf1ff
	v_add_co_ci_u32_e64 v1, s2, s15, v8, s2
	global_load_b32 v25, v[7:8], off
	global_load_b32 v26, v[0:1], off
	v_add_co_u32 v0, s2, v0, s14
	s_wait_alu 0xf1ff
	v_add_co_ci_u32_e64 v1, s2, s15, v1, s2
	s_delay_alu instid0(VALU_DEP_2) | instskip(SKIP_1) | instid1(VALU_DEP_2)
	v_add_co_u32 v7, s2, v0, s14
	s_wait_alu 0xf1ff
	v_add_co_ci_u32_e64 v8, s2, s15, v1, s2
	global_load_b32 v27, v[0:1], off
	v_add_co_u32 v0, s2, v7, s14
	s_wait_alu 0xf1ff
	v_add_co_ci_u32_e64 v1, s2, s15, v8, s2
	global_load_b32 v28, v[7:8], off
	global_load_b32 v29, v[0:1], off
	v_add_co_u32 v0, s2, v0, s14
	s_wait_alu 0xf1ff
	v_add_co_ci_u32_e64 v1, s2, s15, v1, s2
	s_delay_alu instid0(VALU_DEP_2) | instskip(SKIP_1) | instid1(VALU_DEP_2)
	v_add_co_u32 v7, s2, v0, s14
	s_wait_alu 0xf1ff
	v_add_co_ci_u32_e64 v8, s2, s15, v1, s2
	global_load_b32 v30, v[0:1], off
	v_add_co_u32 v0, s2, v7, s14
	s_wait_alu 0xf1ff
	v_add_co_ci_u32_e64 v1, s2, s15, v8, s2
	global_load_b32 v31, v[7:8], off
	;; [unrolled: 4-line block ×4, first 2 shown]
	global_load_b32 v0, v[0:1], off
	v_add_nc_u32_e32 v1, 0x400, v83
	v_add_nc_u32_e32 v8, 0x800, v83
	s_wait_loadcnt 0x19
	v_lshrrev_b32_e32 v34, 16, v9
	s_wait_loadcnt 0x18
	v_lshrrev_b32_e32 v35, 16, v10
	s_wait_loadcnt 0x17
	v_lshrrev_b32_e32 v36, 16, v11
	s_wait_loadcnt 0x16
	v_lshrrev_b32_e32 v37, 16, v12
	s_wait_loadcnt 0x15
	v_lshrrev_b32_e32 v38, 16, v13
	s_wait_loadcnt 0x14
	v_lshrrev_b32_e32 v39, 16, v14
	s_wait_loadcnt 0x13
	v_lshrrev_b32_e32 v40, 16, v15
	s_wait_loadcnt 0x12
	v_lshrrev_b32_e32 v41, 16, v16
	s_wait_loadcnt 0x11
	v_lshrrev_b32_e32 v43, 16, v17
	v_mul_f16_e32 v47, v34, v17
	s_wait_loadcnt 0x10
	v_lshrrev_b32_e32 v48, 16, v18
	v_mul_f16_e32 v50, v35, v18
	s_wait_loadcnt 0xf
	v_lshrrev_b32_e32 v42, 16, v19
	v_mul_f16_e32 v34, v34, v43
	v_fma_f16 v43, v9, v43, -v47
	s_wait_loadcnt 0xe
	v_lshrrev_b32_e32 v44, 16, v20
	s_wait_loadcnt 0xd
	v_lshrrev_b32_e32 v45, 16, v21
	;; [unrolled: 2-line block ×3, first 2 shown]
	v_fmac_f16_e32 v34, v9, v17
	v_mul_f16_e32 v9, v35, v48
	v_fma_f16 v35, v10, v48, -v50
	s_wait_loadcnt 0xb
	v_lshrrev_b32_e32 v49, 16, v23
	s_wait_loadcnt 0xa
	v_lshrrev_b32_e32 v17, 16, v24
	v_mul_f16_e32 v47, v36, v24
	v_fmac_f16_e32 v9, v10, v18
	v_pack_b32_f16 v34, v34, v43
	s_delay_alu instid0(VALU_DEP_4)
	v_mul_f16_e32 v10, v36, v17
	s_wait_loadcnt 0x9
	v_lshrrev_b32_e32 v18, 16, v25
	v_mul_f16_e32 v36, v37, v25
	v_fma_f16 v17, v11, v17, -v47
	v_pack_b32_f16 v9, v9, v35
	v_fmac_f16_e32 v10, v11, v24
	v_mul_f16_e32 v11, v37, v18
	s_wait_loadcnt 0x8
	v_lshrrev_b32_e32 v24, 16, v26
	v_fma_f16 v18, v12, v18, -v36
	v_mul_f16_e32 v35, v38, v26
	ds_store_2addr_b32 v83, v34, v9 offset0:65 offset1:190
	v_pack_b32_f16 v9, v10, v17
	v_fmac_f16_e32 v11, v12, v25
	v_mul_f16_e32 v10, v38, v24
	s_wait_loadcnt 0x7
	v_lshrrev_b32_e32 v12, 16, v27
	v_mul_f16_e32 v17, v39, v27
	v_fma_f16 v24, v13, v24, -v35
	v_pack_b32_f16 v11, v11, v18
	v_fmac_f16_e32 v10, v13, v26
	v_mul_f16_e32 v13, v39, v12
	v_fma_f16 v12, v14, v12, -v17
	s_wait_loadcnt 0x6
	v_lshrrev_b32_e32 v17, 16, v28
	ds_store_2addr_b32 v1, v9, v11 offset0:59 offset1:184
	v_pack_b32_f16 v1, v10, v24
	v_fmac_f16_e32 v13, v14, v27
	s_wait_loadcnt 0x5
	v_lshrrev_b32_e32 v10, 16, v29
	v_mul_f16_e32 v18, v40, v28
	v_mul_f16_e32 v9, v40, v17
	;; [unrolled: 1-line block ×3, first 2 shown]
	v_pack_b32_f16 v12, v13, v12
	v_mul_f16_e32 v13, v41, v10
	v_fma_f16 v11, v15, v17, -v18
	v_fmac_f16_e32 v9, v15, v28
	s_wait_loadcnt 0x4
	v_lshrrev_b32_e32 v15, 16, v30
	v_fma_f16 v10, v16, v10, -v14
	v_mul_f16_e32 v14, v42, v30
	v_fmac_f16_e32 v13, v16, v29
	s_wait_loadcnt 0x3
	v_lshrrev_b32_e32 v16, 16, v31
	v_pack_b32_f16 v9, v9, v11
	v_mul_f16_e32 v11, v42, v15
	v_fma_f16 v14, v19, v15, -v14
	v_mul_f16_e32 v15, v44, v31
	v_pack_b32_f16 v10, v13, v10
	v_mul_f16_e32 v13, v44, v16
	v_fmac_f16_e32 v11, v19, v30
	s_wait_loadcnt 0x2
	v_lshrrev_b32_e32 v17, 16, v32
	v_fma_f16 v15, v20, v16, -v15
	v_mul_f16_e32 v16, v45, v32
	v_fmac_f16_e32 v13, v20, v31
	s_wait_loadcnt 0x1
	v_lshrrev_b32_e32 v18, 16, v7
	s_wait_loadcnt 0x0
	v_lshrrev_b32_e32 v19, 16, v0
	v_pack_b32_f16 v11, v11, v14
	v_mul_f16_e32 v14, v45, v17
	v_fma_f16 v16, v21, v17, -v16
	v_mul_f16_e32 v17, v46, v7
	v_pack_b32_f16 v13, v13, v15
	v_mul_f16_e32 v15, v46, v18
	v_mul_f16_e32 v20, v49, v19
	;; [unrolled: 1-line block ×3, first 2 shown]
	v_fmac_f16_e32 v14, v21, v32
	v_fma_f16 v17, v22, v18, -v17
	v_fmac_f16_e32 v15, v22, v7
	v_fmac_f16_e32 v20, v23, v0
	v_fma_f16 v0, v23, v19, -v24
	v_add_nc_u32_e32 v7, 0x1000, v83
	v_pack_b32_f16 v14, v14, v16
	v_pack_b32_f16 v15, v15, v17
	v_add_nc_u32_e32 v16, 0x1400, v83
	v_pack_b32_f16 v0, v20, v0
	ds_store_2addr_b32 v8, v1, v12 offset0:53 offset1:178
	ds_store_2addr_b32 v33, v9, v10 offset0:47 offset1:172
	;; [unrolled: 1-line block ×4, first 2 shown]
	ds_store_b32 v83, v0 offset:6260
.LBB0_3:
	s_wait_alu 0xfffe
	s_or_b32 exec_lo, exec_lo, s3
	global_wb scope:SCOPE_SE
	s_wait_storecnt_dscnt 0x0
	s_wait_kmcnt 0x0
	s_barrier_signal -1
	s_barrier_wait -1
	global_inv scope:SCOPE_SE
	ds_load_2addr_b32 v[12:13], v83 offset1:125
	ds_load_2addr_b32 v[20:21], v2 offset0:122 offset1:247
	ds_load_2addr_b32 v[16:17], v3 offset0:116 offset1:241
	;; [unrolled: 1-line block ×5, first 2 shown]
	ds_load_b32 v66, v83 offset:6000
	s_load_b64 s[0:1], s[0:1], 0x8
	v_mov_b32_e32 v2, 0
                                        ; implicit-def: $vgpr24
                                        ; implicit-def: $vgpr1
                                        ; implicit-def: $vgpr5
                                        ; implicit-def: $vgpr7
                                        ; implicit-def: $vgpr9
                                        ; implicit-def: $vgpr11
	s_and_saveexec_b32 s2, vcc_lo
	s_cbranch_execz .LBB0_5
; %bb.4:
	v_add_nc_u32_e32 v0, 0x400, v83
	v_add_nc_u32_e32 v1, 0x800, v83
	;; [unrolled: 1-line block ×5, first 2 shown]
	ds_load_2addr_b32 v[2:3], v83 offset0:65 offset1:190
	ds_load_2addr_b32 v[10:11], v0 offset0:59 offset1:184
	;; [unrolled: 1-line block ×6, first 2 shown]
	ds_load_b32 v24, v83 offset:6260
.LBB0_5:
	s_wait_alu 0xfffe
	s_or_b32 exec_lo, exec_lo, s2
	s_wait_dscnt 0x0
	v_pk_add_f16 v25, v3, v24 neg_lo:[0,1] neg_hi:[0,1]
	v_pk_add_f16 v26, v10, v1 neg_lo:[0,1] neg_hi:[0,1]
	v_pk_add_f16 v28, v24, v3
	v_pk_add_f16 v30, v1, v10
	v_pk_add_f16 v27, v11, v0 neg_lo:[0,1] neg_hi:[0,1]
	v_lshrrev_b32_e32 v50, 16, v25
	v_lshrrev_b32_e32 v52, 16, v26
	v_pk_add_f16 v32, v12, v13
	v_lshrrev_b32_e32 v40, 16, v28
	v_mul_f16_e32 v49, 0xb770, v25
	v_mul_f16_e32 v46, 0xb770, v50
	;; [unrolled: 1-line block ×3, first 2 shown]
	v_lshrrev_b32_e32 v53, 16, v27
	v_lshrrev_b32_e32 v37, 16, v2
	v_pk_add_f16 v31, v0, v11
	v_fmamk_f16 v29, v28, 0x3b15, v46
	v_fmamk_f16 v34, v30, 0x388b, v45
	v_lshrrev_b32_e32 v38, 16, v30
	v_mul_f16_e32 v48, 0xba95, v26
	v_fma_f16 v33, v40, 0x3b15, -v49
	v_add_f16_e32 v29, v29, v2
	v_mul_f16_e32 v47, 0xbbf1, v53
	v_pk_add_f16 v32, v32, v20
	v_lshrrev_b32_e32 v39, 16, v31
	v_fma_f16 v35, v38, 0x388b, -v48
	v_add_f16_e32 v34, v34, v29
	v_pk_add_f16 v29, v8, v5 neg_lo:[0,1] neg_hi:[0,1]
	v_add_f16_e32 v33, v33, v37
	v_fmamk_f16 v36, v31, 0x2fb7, v47
	v_mul_f16_e32 v60, 0xbbf1, v27
	v_pk_add_f16 v32, v32, v21
	v_lshrrev_b32_e32 v65, 16, v29
	v_add_f16_e32 v33, v35, v33
	v_add_f16_e32 v36, v36, v34
	v_fma_f16 v35, v39, 0x2fb7, -v60
	v_pk_add_f16 v34, v5, v8
	v_mul_f16_e32 v54, 0xbb7b, v65
	v_pk_add_f16 v41, v32, v16
	v_pk_add_f16 v32, v9, v4 neg_lo:[0,1] neg_hi:[0,1]
	v_add_f16_e32 v42, v35, v33
	v_lshrrev_b32_e32 v43, 16, v34
	v_fmamk_f16 v33, v34, 0xb5ac, v54
	v_pk_add_f16 v41, v41, v17
	v_mul_f16_e32 v62, 0xbb7b, v29
	v_pk_add_f16 v35, v4, v9
	v_lshrrev_b32_e32 v64, 16, v32
	v_add_f16_e32 v36, v33, v36
	v_pk_add_f16 v33, v41, v14
	v_fma_f16 v41, v43, 0xb5ac, -v62
	v_lshrrev_b32_e32 v44, 16, v35
	v_mul_f16_e32 v61, 0xb94e, v32
	v_mul_f16_e32 v51, 0xb94e, v64
	v_pk_add_f16 v55, v33, v15
	v_pk_add_f16 v33, v6, v7 neg_lo:[0,1] neg_hi:[0,1]
	v_add_f16_e32 v41, v41, v42
	v_fma_f16 v42, v44, 0xb9fd, -v61
	v_fmamk_f16 v59, v35, 0xb9fd, v51
	v_pk_add_f16 v55, v55, v18
	v_lshrrev_b32_e32 v63, 16, v33
	global_wb scope:SCOPE_SE
	v_add_f16_e32 v69, v42, v41
	v_pk_add_f16 v42, v13, v66 neg_lo:[0,1] neg_hi:[0,1]
	v_pk_add_f16 v67, v55, v19
	v_add_f16_e32 v68, v59, v36
	v_pk_add_f16 v36, v7, v6
	v_mul_f16_e32 v55, 0xb3a8, v63
	v_lshrrev_b32_e32 v72, 16, v42
	v_pk_add_f16 v70, v67, v22
	v_pk_add_f16 v67, v66, v13
	v_lshrrev_b32_e32 v41, 16, v36
	v_fmamk_f16 v13, v36, 0xbbc4, v55
	v_mul_f16_e32 v74, 0xb770, v72
	v_pk_add_f16 v70, v70, v23
	v_pk_mul_f16 v75, 0x3b15388b, v67
	v_mul_f16_e32 v59, 0xb3a8, v33
	v_add_f16_e32 v113, v13, v68
	v_mul_f16_e32 v78, 0xbbf1, v42
	v_pk_add_f16 v13, v70, v66
	v_fma_f16 v66, v67, 0x3b15, -v74
	v_pk_fma_f16 v68, 0xba95b770, v42, v75 op_sel:[0,0,1] op_sel_hi:[1,1,0] neg_lo:[0,1,0] neg_hi:[0,1,0]
	v_pk_fma_f16 v70, 0xba95b770, v42, v75 op_sel:[0,0,1] op_sel_hi:[1,1,0]
	v_fma_f16 v73, v41, 0xbbc4, -v59
	v_mul_f16_e32 v75, 0xba95, v42
	v_add_f16_e32 v76, v12, v66
	v_fmac_f16_e32 v74, 0x3b15, v67
	v_bfi_b32 v66, 0xffff, v70, v68
	v_add_f16_e32 v114, v73, v69
	v_lshrrev_b32_e32 v73, 16, v67
	v_mul_f16_e32 v81, 0xbb7b, v42
	v_lshrrev_b32_e32 v69, 16, v12
	v_pk_add_f16 v79, v12, v66 op_sel:[1,0] op_sel_hi:[0,1]
	v_pk_add_f16 v66, v20, v23 neg_lo:[0,1] neg_hi:[0,1]
	v_pk_add_f16 v20, v23, v20
	v_mul_f16_e32 v23, 0xb94e, v42
	v_fmamk_f16 v77, v73, 0x388b, v75
	v_add_f16_e32 v74, v12, v74
	v_lshrrev_b32_e32 v82, 16, v66
	v_fma_f16 v75, v73, 0x388b, -v75
	v_fmamk_f16 v80, v73, 0x2fb7, v78
	v_fma_f16 v78, v73, 0x2fb7, -v78
	v_fmamk_f16 v112, v73, 0xb5ac, v81
	v_mul_f16_e32 v115, 0xba95, v82
	v_fma_f16 v81, v73, 0xb5ac, -v81
	v_pk_mul_f16 v116, 0x388bb5ac, v20
	v_fmamk_f16 v117, v73, 0xb9fd, v23
	v_fma_f16 v73, v73, 0xb9fd, -v23
	v_fma_f16 v118, v20, 0x388b, -v115
	v_fmac_f16_e32 v115, 0x388b, v20
	v_pk_add_f16 v23, v22, v21
	v_pk_add_f16 v21, v21, v22 neg_lo:[0,1] neg_hi:[0,1]
	v_pk_add_f16 v22, v19, v16
	v_pk_add_f16 v16, v16, v19 neg_lo:[0,1] neg_hi:[0,1]
	;; [unrolled: 2-line block ×3, first 2 shown]
	v_lshrrev_b32_e32 v18, 16, v20
	v_mul_f16_e32 v120, 0xbb7b, v66
	v_add_f16_e32 v77, v69, v77
	v_pk_fma_f16 v119, 0xbb7bba95, v66, v116 op_sel:[0,0,1] op_sel_hi:[1,1,0] neg_lo:[0,1,0] neg_hi:[0,1,0]
	v_pk_fma_f16 v116, 0xbb7bba95, v66, v116 op_sel:[0,0,1] op_sel_hi:[1,1,0]
	v_mul_f16_e32 v121, 0xbbf1, v72
	v_add_f16_e32 v74, v115, v74
	v_fmamk_f16 v115, v18, 0xb5ac, v120
	v_add_f16_e32 v76, v118, v76
	v_bfi_b32 v118, 0xffff, v116, v119
	v_pk_add_f16 v70, v12, v70 op_sel:[1,0] op_sel_hi:[0,1]
	v_fma_f16 v122, v67, 0x2fb7, -v121
	v_add_f16_e32 v77, v115, v77
	v_mul_f16_e32 v115, 0xb3a8, v82
	v_add_f16_e32 v75, v69, v75
	v_pk_add_f16 v79, v118, v79
	v_fma_f16 v118, v18, 0xb5ac, -v120
	v_add_f16_e32 v120, v12, v122
	v_pk_add_f16 v70, v116, v70
	v_mul_f16_e32 v116, 0xb3a8, v66
	v_fma_f16 v122, v20, 0xbbc4, -v115
	v_add_f16_e32 v75, v118, v75
	v_fmac_f16_e32 v121, 0x2fb7, v67
	v_add_f16_e32 v80, v69, v80
	v_fmamk_f16 v118, v18, 0xbbc4, v116
	v_add_f16_e32 v120, v122, v120
	v_mul_f16_e32 v122, 0xbb7b, v72
	v_add_f16_e32 v121, v12, v121
	v_fmac_f16_e32 v115, 0xbbc4, v20
	v_add_f16_e32 v80, v118, v80
	v_mul_f16_e32 v123, 0x394e, v82
	v_fma_f16 v118, v67, 0xb5ac, -v122
	v_add_f16_e32 v78, v69, v78
	v_fma_f16 v116, v18, 0xbbc4, -v116
	v_add_f16_e32 v115, v115, v121
	;; [unrolled: 2-line block ×3, first 2 shown]
	v_fmac_f16_e32 v122, 0xb5ac, v67
	v_mul_f16_e32 v72, 0xb94e, v72
	v_mul_f16_e32 v124, 0x394e, v66
	v_add_f16_e32 v78, v116, v78
	v_add_f16_e32 v116, v121, v118
	;; [unrolled: 1-line block ×3, first 2 shown]
	v_fma_f16 v121, v67, 0xb9fd, -v72
	v_mul_f16_e32 v82, 0x3bf1, v82
	v_fmac_f16_e32 v123, 0xb9fd, v20
	v_fmamk_f16 v125, v18, 0xb9fd, v124
	v_add_f16_e32 v81, v69, v81
	v_fma_f16 v122, v18, 0xb9fd, -v124
	v_add_f16_e32 v121, v12, v121
	v_fma_f16 v124, v20, 0x2fb7, -v82
	v_add_f16_e32 v118, v123, v118
	v_mul_f16_e32 v123, 0x3bf1, v66
	v_fmac_f16_e32 v72, 0xb9fd, v67
	v_add_f16_e32 v81, v122, v81
	v_add_f16_e32 v121, v124, v121
	;; [unrolled: 1-line block ×3, first 2 shown]
	v_fmamk_f16 v122, v18, 0x2fb7, v123
	v_lshrrev_b32_e32 v124, 16, v21
	v_add_f16_e32 v72, v12, v72
	v_fmac_f16_e32 v82, 0x2fb7, v20
	v_add_f16_e32 v73, v69, v73
	v_fma_f16 v18, v18, 0x2fb7, -v123
	v_pk_mul_f16 v123, 0x2fb7bbc4, v23
	v_add_f16_e32 v117, v122, v117
	v_mul_f16_e32 v122, 0xbbf1, v124
	v_add_f16_e32 v112, v69, v112
	v_add_f16_e32 v72, v82, v72
	;; [unrolled: 1-line block ×3, first 2 shown]
	v_pk_fma_f16 v73, 0xb3a8bbf1, v21, v123 op_sel:[0,0,1] op_sel_hi:[1,1,0] neg_lo:[0,1,0] neg_hi:[0,1,0]
	v_pk_fma_f16 v82, 0xb3a8bbf1, v21, v123 op_sel:[0,0,1] op_sel_hi:[1,1,0]
	v_fma_f16 v123, v23, 0x2fb7, -v122
	v_add_f16_e32 v112, v125, v112
	v_lshrrev_b32_e32 v125, 16, v23
	v_mul_f16_e32 v126, 0xb3a8, v21
	v_fmac_f16_e32 v122, 0x2fb7, v23
	v_bfi_b32 v127, 0xffff, v82, v73
	v_add_f16_e32 v76, v123, v76
	v_mul_f16_e32 v123, 0x3b7b, v124
	v_fma_f16 v128, 0xbbc4, v125, v126
	v_add_f16_e32 v74, v122, v74
	v_pk_add_f16 v79, v127, v79
	v_fma_f16 v122, v125, 0xbbc4, -v126
	v_fma_f16 v126, v23, 0xb5ac, -v123
	v_mul_f16_e32 v127, 0x3b7b, v21
	v_pk_add_f16 v70, v82, v70
	v_fmac_f16_e32 v123, 0xb5ac, v23
	v_add_f16_e32 v75, v122, v75
	v_add_f16_e32 v82, v126, v120
	v_fmamk_f16 v122, v125, 0xb5ac, v127
	v_mul_f16_e32 v126, 0x3770, v21
	v_mul_f16_e32 v120, 0x3770, v124
	v_add_f16_e64 v77, v128, v77
	v_fma_f16 v127, v125, 0xb5ac, -v127
	v_add_f16_e32 v80, v122, v80
	v_fmamk_f16 v122, v125, 0x3b15, v126
	v_fma_f16 v128, v23, 0x3b15, -v120
	v_add_f16_e32 v115, v123, v115
	v_mul_f16_e32 v123, 0xba95, v124
	v_fmac_f16_e32 v120, 0x3b15, v23
	v_add_f16_e32 v112, v122, v112
	v_fma_f16 v122, v125, 0x3b15, -v126
	v_mul_f16_e32 v124, 0xba95, v21
	v_add_f16_e32 v78, v127, v78
	v_fma_f16 v126, v23, 0x388b, -v123
	v_add_f16_e32 v118, v120, v118
	v_lshrrev_b32_e32 v120, 16, v16
	v_add_f16_e32 v81, v122, v81
	v_fmamk_f16 v122, v125, 0x388b, v124
	v_pk_mul_f16 v127, 0xb5acb9fd, v22
	v_add_f16_e32 v121, v126, v121
	v_fmac_f16_e32 v123, 0x388b, v23
	v_mul_f16_e32 v126, 0xbb7b, v120
	v_add_f16_e32 v117, v122, v117
	v_fma_f16 v122, v125, 0x388b, -v124
	v_pk_fma_f16 v124, 0x394ebb7b, v16, v127 op_sel:[0,0,1] op_sel_hi:[1,1,0] neg_lo:[0,1,0] neg_hi:[0,1,0]
	v_pk_fma_f16 v125, 0x394ebb7b, v16, v127 op_sel:[0,0,1] op_sel_hi:[1,1,0]
	v_add_f16_e64 v116, v128, v116
	v_add_f16_e32 v72, v123, v72
	v_fma_f16 v123, v22, 0xb5ac, -v126
	v_lshrrev_b32_e32 v127, 16, v22
	v_mul_f16_e64 v128, 0x394e, v16
	v_add_f16_e32 v18, v122, v18
	v_bfi_b32 v122, 0xffff, v125, v124
	v_fmac_f16_e32 v126, 0xb5ac, v22
	v_add_f16_e32 v76, v123, v76
	v_fma_f16 v123, 0xb9fd, v127, v128
	v_mul_f16_e64 v129, 0x3770, v120
	v_pk_add_f16 v79, v122, v79
	v_fma_f16 v122, v127, 0xb9fd, -v128
	v_add_f16_e32 v74, v126, v74
	v_add_f16_e32 v77, v123, v77
	v_fma_f16 v123, v22, 0x3b15, -v129
	v_mul_f16_e32 v126, 0x3770, v16
	v_add_f16_e32 v75, v122, v75
	v_mul_f16_e32 v122, 0xbbf1, v120
	v_pk_add_f16 v70, v125, v70
	v_add_f16_e32 v82, v123, v82
	v_fmamk_f16 v123, v127, 0x3b15, v126
	v_fma_f16 v125, v127, 0x3b15, -v126
	v_fma_f16 v126, v22, 0x2fb7, -v122
	v_mul_f16_e64 v128, 0xbbf1, v16
	v_mul_f16_e32 v120, 0x33a8, v120
	v_add_f16_e32 v80, v123, v80
	v_add_f16_e32 v78, v125, v78
	;; [unrolled: 1-line block ×3, first 2 shown]
	v_fma_f16 v123, 0x2fb7, v127, v128
	v_fmac_f16_e32 v122, 0x2fb7, v22
	v_fma_f16 v125, v127, 0x2fb7, -v128
	v_mul_f16_e32 v126, 0x33a8, v16
	v_fmac_f16_e64 v129, 0x3b15, v22
	v_add_f16_e32 v112, v123, v112
	v_fma_f16 v123, v22, 0xbbc4, -v120
	v_add_f16_e32 v118, v122, v118
	v_add_f16_e32 v81, v125, v81
	v_fmamk_f16 v122, v127, 0xbbc4, v126
	v_lshrrev_b32_e32 v125, 16, v17
	v_add_f16_e32 v121, v123, v121
	v_fmac_f16_e32 v120, 0xbbc4, v22
	v_pk_mul_f16 v123, 0xb9fd2fb7, v19
	v_add_f16_e32 v117, v122, v117
	v_mul_f16_e32 v122, 0xb94e, v125
	v_add_f16_e64 v115, v129, v115
	v_fma_f16 v126, v127, 0xbbc4, -v126
	v_add_f16_e32 v72, v120, v72
	v_pk_fma_f16 v120, 0x3bf1b94e, v17, v123 op_sel:[0,0,1] op_sel_hi:[1,1,0] neg_lo:[0,1,0] neg_hi:[0,1,0]
	v_pk_fma_f16 v123, 0x3bf1b94e, v17, v123 op_sel:[0,0,1] op_sel_hi:[1,1,0]
	v_fma_f16 v127, v19, 0xb9fd, -v122
	v_fmac_f16_e32 v122, 0xb9fd, v19
	v_lshrrev_b32_e32 v128, 16, v19
	v_mul_f16_e64 v129, 0x3bf1, v17
	v_bfi_b32 v130, 0xffff, v123, v120
	v_add_f16_e32 v18, v126, v18
	v_add_f16_e32 v76, v127, v76
	;; [unrolled: 1-line block ×3, first 2 shown]
	v_fma_f16 v122, 0x2fb7, v128, v129
	v_fma_f16 v126, v128, 0x2fb7, -v129
	v_mul_f16_e32 v127, 0xba95, v125
	v_mul_f16_e64 v129, 0xba95, v17
	v_pk_add_f16 v79, v130, v79
	v_add_f16_e32 v77, v122, v77
	v_mul_f16_e32 v122, 0x33a8, v125
	v_add_f16_e32 v75, v126, v75
	v_fma_f16 v126, v19, 0x388b, -v127
	v_fma_f16 v130, 0x388b, v128, v129
	v_fmac_f16_e32 v127, 0x388b, v19
	v_mul_f16_e64 v132, 0x33a8, v17
	v_fma_f16 v131, v19, 0xbbc4, -v122
	v_fmac_f16_e32 v122, 0xbbc4, v19
	v_add_f16_e64 v80, v130, v80
	v_add_f16_e32 v115, v127, v115
	v_mul_f16_e32 v127, 0x3770, v17
	v_fma_f16 v130, v128, 0xbbc4, -v132
	v_add_f16_e32 v118, v122, v118
	v_add_f16_e32 v68, v69, v68
	;; [unrolled: 1-line block ×3, first 2 shown]
	v_fma_f16 v122, 0x3b15, v128, v127
	v_add_f16_e64 v81, v130, v81
	v_pk_add_f16 v130, v14, v15 neg_lo:[0,1] neg_hi:[0,1]
	v_fma_f16 v126, 0xbbc4, v128, v132
	v_mul_f16_e32 v125, 0x3770, v125
	v_add_f16_e32 v69, v122, v117
	v_add_f16_e32 v68, v119, v68
	v_lshrrev_b32_e32 v122, 16, v130
	v_pk_add_f16 v14, v15, v14
	v_add_f16_e32 v112, v126, v112
	v_fma_f16 v126, v19, 0x3b15, -v125
	v_fmac_f16_e32 v125, 0x3b15, v19
	v_fma_f16 v15, v128, 0x3b15, -v127
	v_mul_f16_e32 v119, 0xb3a8, v122
	v_add_f16_e32 v68, v73, v68
	v_pk_mul_f16 v73, 0xbbc43b15, v14
	v_add_f16_e32 v72, v125, v72
	v_add_f16_e32 v15, v15, v18
	v_fma_f16 v18, v14, 0xbbc4, -v119
	v_fmac_f16_e32 v119, 0xbbc4, v14
	v_add_f16_e32 v68, v124, v68
	v_pk_fma_f16 v124, 0x3770b3a8, v130, v73 op_sel:[0,0,1] op_sel_hi:[1,1,0] neg_lo:[0,1,0] neg_hi:[0,1,0]
	v_pk_fma_f16 v125, 0x3770b3a8, v130, v73 op_sel:[0,0,1] op_sel_hi:[1,1,0]
	v_add_f16_e32 v18, v18, v76
	v_add_f16_e32 v74, v119, v74
	v_pk_mul_f16 v67, 0xbbc4, v67 op_sel_hi:[0,1]
	v_add_f16_e32 v68, v120, v68
	v_bfi_b32 v76, 0xffff, v125, v124
	v_lshrrev_b32_e32 v119, 16, v14
	v_mul_f16_e64 v120, 0x3770, v130
	v_pk_fma_f16 v125, 0xb3a8, v42, v67 op_sel:[0,0,1] op_sel_hi:[0,1,0] neg_lo:[0,1,0] neg_hi:[0,1,0]
	v_pk_fma_f16 v42, 0xb3a8, v42, v67 op_sel:[0,0,1] op_sel_hi:[0,1,0]
	v_add_f16_e32 v67, v124, v68
	v_pk_add_f16 v68, v76, v79
	v_fmamk_f16 v76, v119, 0x3b15, v120
	v_fma_f16 v120, v119, 0x3b15, -v120
	v_mul_f16_e32 v124, 0xb94e, v122
	v_pk_add_f16 v79, v12, v125 op_sel:[1,0] op_sel_hi:[0,1]
	v_pk_add_f16 v12, v12, v42 op_sel:[1,0] op_sel_hi:[0,1]
	v_mul_f16_e64 v125, 0x3a95, v130
	v_add_f16_e32 v75, v120, v75
	v_fma_f16 v42, v14, 0xb9fd, -v124
	v_mul_f16_e32 v120, 0x3a95, v122
	v_add_f16_e64 v116, v131, v116
	v_pk_mul_f16 v20, 0x3b15, v20 op_sel_hi:[0,1]
	v_fmac_f16_e32 v124, 0xb9fd, v14
	v_add_f16_e32 v82, v42, v82
	v_fma_f16 v42, v14, 0x388b, -v120
	v_fmac_f16_e32 v120, 0x388b, v14
	v_pk_mul_f16 v23, 0xb9fd, v23 op_sel_hi:[0,1]
	v_add_f16_e32 v115, v124, v115
	v_pk_mul_f16 v22, 0x388b, v22 op_sel_hi:[0,1]
	v_add_f16_e32 v116, v42, v116
	v_add_f16_e32 v118, v120, v118
	v_fma_f16 v120, v119, 0x388b, -v125
	v_mul_f16_e32 v42, 0xbb7b, v122
	v_mul_f16_e64 v122, 0xbb7b, v130
	v_pk_mul_f16 v19, 0xb5ac, v19 op_sel_hi:[0,1]
	v_add_f16_e32 v121, v126, v121
	v_add_f16_e32 v81, v120, v81
	v_pk_fma_f16 v120, 0x3770, v66, v20 op_sel:[0,0,1] op_sel_hi:[0,1,0] neg_lo:[0,1,0] neg_hi:[0,1,0]
	v_fma_f16 v124, v14, 0xb5ac, -v42
	v_fmac_f16_e32 v42, 0xb5ac, v14
	v_pk_fma_f16 v20, 0x3770, v66, v20 op_sel:[0,0,1] op_sel_hi:[0,1,0]
	v_fma_f16 v117, v128, 0x388b, -v129
	v_pk_add_f16 v79, v120, v79
	v_mul_lo_u16 v120, v252, 13
	v_add_f16_e32 v72, v42, v72
	v_add_co_u32 v42, s2, 0x41, v252
	s_wait_alu 0xf1ff
	v_add_co_ci_u32_e64 v66, null, 0, 0, s2
	v_and_b32_e32 v66, 0xffff, v120
	v_pk_add_f16 v12, v20, v12
	v_pk_fma_f16 v20, 0xb94e, v21, v23 op_sel:[0,0,1] op_sel_hi:[0,1,0] neg_lo:[0,1,0] neg_hi:[0,1,0]
	v_pk_fma_f16 v21, 0xb94e, v21, v23 op_sel:[0,0,1] op_sel_hi:[0,1,0]
	v_add_f16_e32 v76, v76, v77
	v_lshl_add_u32 v160, v66, 2, v87
	v_mul_f16_e64 v66, 0xb94e, v130
	v_pk_add_f16 v20, v20, v79
	v_pk_add_f16 v12, v21, v12
	v_pk_fma_f16 v21, 0x3a95, v16, v22 op_sel:[0,0,1] op_sel_hi:[0,1,0] neg_lo:[0,1,0] neg_hi:[0,1,0]
	v_pk_fma_f16 v16, 0x3a95, v16, v22 op_sel:[0,0,1] op_sel_hi:[0,1,0]
	v_mul_f16_e32 v77, 0xb9fd, v119
	v_fmamk_f16 v127, v119, 0x388b, v125
	v_fmamk_f16 v125, v119, 0xb5ac, v122
	v_pk_mul_f16 v23, 0x3770b3a8, v130
	v_pk_add_f16 v20, v21, v20
	v_pk_fma_f16 v21, 0xbb7b, v17, v19 op_sel:[0,0,1] op_sel_hi:[0,1,0] neg_lo:[0,1,0] neg_hi:[0,1,0]
	v_pk_add_f16 v12, v16, v12
	v_pk_fma_f16 v16, 0xbb7b, v17, v19 op_sel:[0,0,1] op_sel_hi:[0,1,0]
	v_pk_mul_f16 v14, 0x2fb7, v14 op_sel_hi:[0,1]
	v_bfi_b32 v19, 0xffff, v66, v70
	v_add_f16_e32 v121, v124, v121
	v_add_f16_e32 v69, v125, v69
	v_pack_b32_f16 v17, v18, v68
	v_pk_add_f16 v18, v21, v20
	v_pk_add_f16 v12, v16, v12
	v_pk_fma_f16 v16, 0x3bf1, v130, v14 op_sel:[0,0,1] op_sel_hi:[0,1,0] neg_lo:[0,1,0] neg_hi:[0,1,0]
	v_pack_b32_f16 v20, v117, v73
	v_bfi_b32 v21, 0xffff, v78, v23
	v_pk_add_f16 v19, v77, v19 neg_lo:[0,1] neg_hi:[0,1]
	v_pk_add_f16 v23, v123, v70
	v_fma_f16 v126, 0xb94e, v130, v77
	v_pk_fma_f16 v14, 0x3bf1, v130, v14 op_sel:[0,0,1] op_sel_hi:[0,1,0]
	v_fma_f16 v119, v119, 0xb5ac, -v122
	v_pack_b32_f16 v66, v121, v69
	v_pk_add_f16 v16, v16, v18
	v_pk_add_f16 v18, v20, v21
	v_bfi_b32 v19, 0xffff, v19, v23
	v_add_f16_e32 v80, v126, v80
	v_add_f16_e32 v112, v127, v112
	v_pk_add_f16 v12, v14, v12
	v_add_f16_e32 v15, v119, v15
	s_wait_kmcnt 0x0
	s_barrier_signal -1
	s_barrier_wait -1
	global_inv scope:SCOPE_SE
	ds_store_2addr_b32 v160, v13, v66 offset1:5
	v_pk_add_f16 v13, v19, v18
	v_alignbit_b32 v22, v76, v68, 16
	v_mul_u32_u24_e32 v86, 13, v42
	v_pack_b32_f16 v14, v116, v112
	v_pack_b32_f16 v20, v82, v80
	v_alignbit_b32 v18, v16, v12, 16
	v_alignbit_b32 v12, v12, v16, 16
	v_pack_b32_f16 v16, v118, v81
	v_pack_b32_f16 v15, v72, v15
	v_alignbit_b32 v19, v75, v13, 16
	v_pack_b32_f16 v13, v115, v13
	v_pack_b32_f16 v21, v74, v67
	ds_store_2addr_b32 v160, v17, v22 offset0:1 offset1:2
	ds_store_2addr_b32 v160, v20, v14 offset0:3 offset1:4
	;; [unrolled: 1-line block ×5, first 2 shown]
	ds_store_b32 v160, v21 offset:48
	s_and_saveexec_b32 s2, vcc_lo
	s_cbranch_execz .LBB0_7
; %bb.6:
	v_mul_f16_e32 v12, 0xb94e, v25
	v_mul_f16_e32 v16, 0x3bf1, v26
	;; [unrolled: 1-line block ×5, first 2 shown]
	v_fmamk_f16 v17, v40, 0xb9fd, v12
	v_fmamk_f16 v21, v38, 0x2fb7, v16
	;; [unrolled: 1-line block ×5, first 2 shown]
	v_add_f16_e32 v17, v17, v37
	v_mul_f16_e32 v77, 0xbb7b, v25
	v_mul_f16_e32 v79, 0xbb7b, v33
	;; [unrolled: 1-line block ×4, first 2 shown]
	v_add_f16_e32 v17, v21, v17
	v_fmamk_f16 v80, v40, 0xb5ac, v77
	v_fmamk_f16 v121, v41, 0xb5ac, v79
	v_mul_f16_e32 v78, 0xba95, v53
	v_fmamk_f16 v112, v38, 0xb9fd, v81
	v_add_f16_e32 v17, v67, v17
	v_mul_f16_e32 v67, 0xb94e, v50
	v_add_f16_e32 v80, v80, v37
	v_mul_f16_e32 v116, 0x3770, v27
	v_mul_f16_e32 v82, 0x33a8, v65
	v_add_f16_e32 v17, v70, v17
	v_fma_f16 v70, v28, 0xb9fd, -v67
	v_add_f16_e32 v80, v112, v80
	v_fmamk_f16 v112, v39, 0x3b15, v116
	v_mul_f16_e32 v118, 0xbbf1, v29
	v_add_f16_e32 v17, v74, v17
	v_add_f16_e32 v70, v70, v2
	v_fma_f16 v74, v30, 0x2fb7, -v75
	v_mul_f16_e64 v128, 0xb3a8, v26
	v_mul_f16_e32 v117, 0x3770, v64
	v_add_f16_e32 v17, v121, v17
	v_mul_f16_e32 v121, 0xbbf1, v25
	v_add_f16_e32 v70, v74, v70
	v_fma_f16 v74, v31, 0x388b, -v78
	v_add_f16_e32 v80, v112, v80
	v_fmamk_f16 v112, v43, 0x2fb7, v118
	v_fmamk_f16 v127, v40, 0x2fb7, v121
	v_mul_f16_e32 v120, 0x33a8, v32
	v_add_f16_e32 v70, v74, v70
	v_fma_f16 v74, v34, 0xbbc4, -v82
	v_fma_f16 v131, 0xbbc4, v38, v128
	v_add_f16_e32 v127, v127, v37
	v_mul_f16_e64 v132, 0x3b7b, v27
	v_mul_f16_e32 v119, 0xbb7b, v63
	v_add_f16_e32 v70, v74, v70
	v_fma_f16 v74, v35, 0x3b15, -v117
	v_add_f16_e32 v80, v112, v80
	v_fmamk_f16 v112, v44, 0xbbc4, v120
	v_add_f16_e64 v127, v131, v127
	v_fma_f16 v131, 0xb5ac, v39, v132
	v_mul_f16_e64 v134, 0x3770, v29
	v_mul_f16_e32 v14, 0x3b15, v28
	v_add_f16_e32 v70, v74, v70
	v_fma_f16 v74, v36, 0xb5ac, -v119
	v_add_f16_e32 v80, v112, v80
	v_mul_f16_e32 v112, 0x388b, v41
	v_add_f16_e64 v127, v131, v127
	v_fma_f16 v131, 0x3b15, v43, v134
	v_mul_f16_e64 v136, 0xba95, v32
	v_mul_f16_e32 v18, 0x388b, v30
	v_add_f16_e32 v70, v74, v70
	v_mul_f16_e32 v74, 0xbb7b, v50
	v_fmamk_f16 v126, v33, 0x3a95, v112
	v_add_f16_e64 v127, v131, v127
	v_fma_f16 v131, 0x388b, v44, v136
	v_mul_f16_e64 v138, 0xb94e, v33
	v_mul_f16_e32 v50, 0xba95, v50
	v_sub_f16_e32 v14, v14, v46
	v_fma_f16 v12, v40, 0xb9fd, -v12
	v_mul_f16_e32 v22, 0x2fb7, v31
	v_mul_f16_e32 v125, 0x394e, v52
	v_add_f16_e64 v127, v131, v127
	v_fma_f16 v131, 0xb9fd, v41, v138
	v_add_f16_e32 v80, v126, v80
	v_fma_f16 v126, v28, 0x388b, -v50
	v_mul_f16_e32 v52, 0xbb7b, v52
	v_add_f16_e32 v14, v14, v2
	v_sub_f16_e32 v18, v18, v45
	v_add_f16_e32 v12, v12, v37
	v_fma_f16 v16, v38, 0x2fb7, -v16
	v_mul_f16_e32 v15, 0x3b15, v40
	v_mul_f16_e32 v21, 0xb5ac, v34
	v_mul_f16_e64 v130, 0x3770, v53
	v_add_f16_e64 v127, v131, v127
	v_add_f16_e32 v126, v126, v2
	v_fma_f16 v131, v30, 0xb5ac, -v52
	v_mul_f16_e32 v53, 0xb3a8, v53
	v_add_f16_e32 v14, v18, v14
	v_sub_f16_e32 v18, v22, v47
	v_add_f16_e32 v12, v16, v12
	v_fma_f16 v16, v39, 0x388b, -v20
	v_mul_f16_e32 v19, 0x388b, v38
	v_mul_f16_e32 v72, 0xb9fd, v35
	v_fma_f16 v124, v28, 0xb5ac, -v74
	v_mul_f16_e64 v133, 0xbbf1, v65
	v_add_f16_e64 v126, v131, v126
	v_fma_f16 v131, v31, 0xbbc4, -v53
	v_mul_f16_e32 v65, 0x394e, v65
	v_add_f16_e32 v15, v49, v15
	v_add_f16_e32 v14, v18, v14
	v_sub_f16_e32 v18, v21, v54
	v_fmac_f16_e32 v67, 0xb9fd, v28
	v_add_f16_e32 v12, v16, v12
	v_fma_f16 v16, v43, 0xbbc4, -v66
	v_mul_f16_e32 v23, 0x2fb7, v39
	v_mul_f16_e32 v76, 0xbbc4, v36
	v_add_f16_e32 v124, v124, v2
	v_fma_f16 v129, v30, 0xb9fd, -v125
	v_mul_f16_e64 v135, 0x33a8, v64
	v_add_f16_e64 v126, v131, v126
	v_fma_f16 v131, v34, 0xb9fd, -v65
	v_add_f16_e32 v15, v15, v37
	v_add_f16_e32 v19, v48, v19
	v_mul_f16_e32 v64, 0x3bf1, v64
	v_add_f16_e32 v14, v18, v14
	v_sub_f16_e32 v18, v72, v51
	v_add_f16_e32 v20, v67, v2
	v_fmac_f16_e32 v75, 0x2fb7, v30
	v_add_f16_e32 v12, v16, v12
	v_fma_f16 v16, v44, 0x3b15, -v69
	v_add_f16_e64 v124, v129, v124
	v_fma_f16 v129, v31, 0x3b15, -v130
	v_add_f16_e64 v46, v131, v126
	v_add_f16_e32 v15, v19, v15
	v_add_f16_e32 v19, v60, v23
	v_fma_f16 v23, v35, 0x2fb7, -v64
	v_mul_f16_e32 v45, 0x3770, v63
	v_add_f16_e32 v14, v18, v14
	v_sub_f16_e32 v18, v76, v55
	v_add_f16_e32 v20, v75, v20
	v_fmac_f16_e32 v78, 0x388b, v31
	v_add_f16_e32 v12, v16, v12
	v_fma_f16 v16, v40, 0xb5ac, -v77
	v_add_f16_e64 v124, v129, v124
	v_fma_f16 v129, v34, 0x2fb7, -v133
	v_add_f16_e32 v23, v23, v46
	v_fma_f16 v22, v36, 0x3b15, -v45
	v_add_f16_e32 v14, v18, v14
	v_add_f16_e32 v18, v78, v20
	;; [unrolled: 1-line block ×3, first 2 shown]
	v_fma_f16 v20, v38, 0xb9fd, -v81
	v_add_f16_e64 v124, v129, v124
	v_fma_f16 v129, v35, 0xbbc4, -v135
	v_mul_f16_e64 v137, 0x3a95, v63
	v_add_f16_e32 v21, v22, v23
	v_add_f16_e32 v16, v20, v16
	v_fma_f16 v20, v39, 0x3b15, -v116
	v_fma_f16 v22, v40, 0x2fb7, -v121
	v_add_f16_e64 v124, v129, v124
	v_fma_f16 v129, v36, 0x388b, -v137
	v_alignbit_b32 v13, v2, v2, 16
	v_add_f16_e32 v16, v20, v16
	v_add_f16_e32 v20, v22, v37
	v_fma_f16 v22, v38, 0xbbc4, -v128
	v_add_f16_e64 v124, v129, v124
	v_pk_mul_f16 v129, 0x388b2fb7, v28
	v_fma_f16 v23, v43, 0x2fb7, -v118
	v_pk_mul_f16 v139, 0xb5acbbc4, v30
	v_add_f16_e32 v20, v22, v20
	v_fma_f16 v22, v39, 0xb5ac, -v132
	v_pk_add_f16 v3, v3, v13 op_sel:[0,1] op_sel_hi:[1,0]
	v_add_f16_e32 v16, v23, v16
	v_pk_fma_f16 v23, 0xbbf1ba95, v25, v129 op_sel:[0,0,1] op_sel_hi:[1,1,0]
	v_mul_f16_e32 v68, 0xb5ac, v43
	v_add_f16_e32 v20, v22, v20
	v_fma_f16 v22, v43, 0x3b15, -v134
	v_pk_mul_f16 v140, 0xbbc4b5ac, v31
	v_pk_add_f16 v38, v23, v13
	v_pk_fma_f16 v39, 0xb3a8bb7b, v26, v139 op_sel:[0,0,1] op_sel_hi:[1,1,0]
	v_pk_add_f16 v3, v10, v3
	v_add_f16_e32 v20, v22, v20
	v_fma_f16 v22, v44, 0x388b, -v136
	v_mul_f16_e32 v73, 0xb9fd, v44
	v_pk_mul_f16 v141, 0xb9fd3b15, v34
	v_add_f16_e32 v15, v19, v15
	v_add_f16_e32 v19, v62, v68
	v_pk_add_f16 v38, v39, v38
	v_pk_fma_f16 v40, 0x3b7bb3a8, v27, v140 op_sel:[0,0,1] op_sel_hi:[1,1,0]
	v_add_f16_e32 v10, v22, v20
	v_fma_f16 v20, v41, 0xb9fd, -v138
	v_pk_add_f16 v3, v11, v3
	v_mul_f16_e32 v122, 0xbbc4, v41
	v_add_f16_e32 v15, v19, v15
	v_add_f16_e32 v19, v61, v73
	v_pk_add_f16 v22, v40, v38
	v_pk_fma_f16 v11, 0x3770394e, v29, v141 op_sel:[0,0,1] op_sel_hi:[1,1,0]
	v_add_f16_e32 v10, v20, v10
	v_pk_fma_f16 v20, 0xbbf1ba95, v25, v129 op_sel:[0,0,1] op_sel_hi:[1,1,0] neg_lo:[0,1,0] neg_hi:[0,1,0]
	v_pk_add_f16 v3, v8, v3
	v_add_f16_e32 v15, v19, v15
	v_add_f16_e32 v19, v59, v122
	v_pk_add_f16 v8, v11, v22
	v_pk_fma_f16 v22, 0xb3a8bb7b, v26, v139 op_sel:[0,0,1] op_sel_hi:[1,1,0] neg_lo:[0,1,0] neg_hi:[0,1,0]
	v_add_f16_e32 v38, v20, v13
	v_pk_add_f16 v3, v9, v3
	v_add_f16_e32 v15, v19, v15
	v_fma_f16 v19, v41, 0xb5ac, -v79
	v_pk_fma_f16 v41, 0x3b7bb3a8, v27, v140 op_sel:[0,0,1] op_sel_hi:[1,1,0] neg_lo:[0,1,0] neg_hi:[0,1,0]
	v_add_f16_e32 v38, v22, v38
	v_pk_add_f16 v3, v6, v3
	v_pk_mul_f16 v49, 0x2fb7388b, v35
	v_pk_fma_f16 v6, 0x3770394e, v29, v141 op_sel:[0,0,1] op_sel_hi:[1,1,0] neg_lo:[0,1,0] neg_hi:[0,1,0]
	v_pk_mul_f16 v142, 0x3b15b9fd, v36
	v_fmac_f16_e32 v74, 0xb5ac, v28
	v_pk_add_f16 v3, v7, v3
	v_add_f16_e32 v7, v41, v38
	v_pk_fma_f16 v43, 0xba953bf1, v32, v49 op_sel:[0,0,1] op_sel_hi:[1,1,0] neg_lo:[0,1,0] neg_hi:[0,1,0]
	v_pk_fma_f16 v38, 0xb94e3770, v33, v142 op_sel:[0,0,1] op_sel_hi:[1,1,0] neg_lo:[0,1,0] neg_hi:[0,1,0]
	v_pk_fma_f16 v9, 0xba953bf1, v32, v49 op_sel:[0,0,1] op_sel_hi:[1,1,0]
	v_pk_add_f16 v3, v4, v3
	v_bfi_b32 v4, 0xffff, v23, v20
	v_add_f16_e32 v7, v6, v7
	v_fmac_f16_e32 v50, 0x388b, v28
	v_add_f16_e32 v12, v19, v12
	v_pk_add_f16 v3, v5, v3
	v_pk_add_f16 v4, v4, v13
	v_bfi_b32 v5, 0xffff, v39, v22
	v_add_f16_e32 v7, v43, v7
	v_pk_mul_f16 v22, 0xb9fd, v31 op_sel_hi:[0,1]
	v_pk_add_f16 v0, v0, v3
	v_add_f16_e32 v19, v74, v2
	v_pk_add_f16 v3, v5, v4
	v_bfi_b32 v4, 0xffff, v40, v41
	v_add_f16_e32 v5, v38, v7
	v_pk_mul_f16 v7, 0xbbc4, v28 op_sel_hi:[0,1]
	v_pk_add_f16 v0, v1, v0
	v_fmac_f16_e32 v125, 0xb9fd, v30
	v_pk_add_f16 v1, v4, v3
	v_bfi_b32 v3, 0xffff, v11, v6
	v_pk_fma_f16 v6, 0xb3a8, v25, v7 op_sel:[0,0,1] op_sel_hi:[0,1,0] neg_lo:[0,1,0] neg_hi:[0,1,0]
	v_pk_mul_f16 v11, 0x3b15, v30 op_sel_hi:[0,1]
	v_pk_fma_f16 v7, 0xb3a8, v25, v7 op_sel:[0,0,1] op_sel_hi:[0,1,0]
	v_add_f16_e32 v2, v50, v2
	v_pk_add_f16 v1, v3, v1
	v_bfi_b32 v3, 0xffff, v9, v43
	v_pk_add_f16 v6, v6, v13
	v_pk_fma_f16 v20, 0x3770, v26, v11 op_sel:[0,0,1] op_sel_hi:[0,1,0] neg_lo:[0,1,0] neg_hi:[0,1,0]
	v_pk_add_f16 v7, v7, v13
	v_pk_fma_f16 v11, 0x3770, v26, v11 op_sel:[0,0,1] op_sel_hi:[0,1,0]
	v_fmac_f16_e32 v52, 0xb5ac, v30
	v_pk_fma_f16 v13, 0xb94e3770, v33, v142 op_sel:[0,0,1] op_sel_hi:[1,1,0]
	v_pack_b32_f16 v14, v14, v15
	v_pk_add_f16 v1, v3, v1
	v_pk_add_f16 v3, v20, v6
	v_pk_fma_f16 v6, 0xb94e, v27, v22 op_sel:[0,0,1] op_sel_hi:[0,1,0] neg_lo:[0,1,0] neg_hi:[0,1,0]
	v_pk_mul_f16 v15, 0x388b, v34 op_sel_hi:[0,1]
	v_pk_add_f16 v7, v11, v7
	v_pk_fma_f16 v11, 0xb94e, v27, v22 op_sel:[0,0,1] op_sel_hi:[0,1,0]
	v_mul_f16_e32 v123, 0x3a95, v33
	v_add_f16_e32 v19, v125, v19
	v_fmac_f16_e64 v130, 0x3b15, v31
	v_add_f16_e32 v2, v52, v2
	v_fmac_f16_e32 v53, 0xbbc4, v31
	v_bfi_b32 v13, 0xffff, v13, v38
	v_pk_add_f16 v3, v6, v3
	v_pk_fma_f16 v6, 0x3a95, v29, v15 op_sel:[0,0,1] op_sel_hi:[0,1,0] neg_lo:[0,1,0] neg_hi:[0,1,0]
	v_pk_mul_f16 v20, 0xb5ac, v35 op_sel_hi:[0,1]
	v_pk_add_f16 v7, v11, v7
	v_pk_fma_f16 v11, 0x3a95, v29, v15 op_sel:[0,0,1] op_sel_hi:[0,1,0]
	v_fmac_f16_e32 v82, 0xbbc4, v34
	v_pk_mul_f16 v48, 0xb94e3770, v33
	v_add_f16_e64 v19, v130, v19
	v_fmac_f16_e64 v133, 0x2fb7, v34
	v_fma_f16 v37, v44, 0xbbc4, -v120
	v_add_f16_e32 v2, v53, v2
	v_fmac_f16_e32 v65, 0xb9fd, v34
	v_pk_add_f16 v1, v13, v1
	v_bfi_b32 v13, 0xffff, v123, v8
	v_pk_add_f16 v3, v6, v3
	v_pk_fma_f16 v6, 0xbb7b, v32, v20 op_sel:[0,0,1] op_sel_hi:[0,1,0] neg_lo:[0,1,0] neg_hi:[0,1,0]
	v_pk_mul_f16 v22, 0x2fb7, v36 op_sel_hi:[0,1]
	v_pk_add_f16 v7, v11, v7
	v_pk_fma_f16 v11, 0xbb7b, v32, v20 op_sel:[0,0,1] op_sel_hi:[0,1,0]
	v_add_f16_e32 v18, v82, v18
	v_fmac_f16_e32 v117, 0x3b15, v35
	v_add_f16_e64 v19, v133, v19
	v_fmac_f16_e64 v135, 0xbbc4, v35
	v_add_f16_e32 v2, v65, v2
	v_fmac_f16_e32 v64, 0x2fb7, v35
	v_pk_add_f16 v13, v112, v13 neg_lo:[0,1] neg_hi:[0,1]
	v_pk_add_f16 v8, v9, v8
	v_pack_b32_f16 v9, v37, v142
	v_bfi_b32 v15, 0xffff, v16, v48
	v_pk_add_f16 v3, v6, v3
	v_pk_fma_f16 v6, 0x3bf1, v33, v22 op_sel:[0,0,1] op_sel_hi:[0,1,0] neg_lo:[0,1,0] neg_hi:[0,1,0]
	v_pk_add_f16 v7, v11, v7
	v_pk_fma_f16 v11, 0x3bf1, v33, v22 op_sel:[0,0,1] op_sel_hi:[0,1,0]
	v_add_f16_e32 v18, v117, v18
	v_fmac_f16_e32 v119, 0xb5ac, v36
	v_add_f16_e64 v19, v135, v19
	v_fmac_f16_e64 v137, 0x388b, v36
	v_add_f16_e32 v2, v64, v2
	v_fmac_f16_e32 v45, 0x3b15, v36
	v_bfi_b32 v8, 0xffff, v13, v8
	v_pk_add_f16 v9, v9, v15
	v_pk_add_f16 v3, v6, v3
	;; [unrolled: 1-line block ×3, first 2 shown]
	v_add_f16_e32 v18, v119, v18
	v_add_f16_e64 v19, v137, v19
	v_add_f16_e32 v2, v45, v2
	v_lshl_add_u32 v4, v86, 2, v87
	v_pk_add_f16 v0, v24, v0
	v_pk_add_f16 v8, v8, v9
	v_alignbit_b32 v16, v127, v1, 16
	v_pack_b32_f16 v1, v21, v1
	v_pack_b32_f16 v7, v70, v17
	;; [unrolled: 1-line block ×3, first 2 shown]
	v_alignbit_b32 v11, v3, v6, 16
	v_alignbit_b32 v3, v6, v3, 16
	v_pack_b32_f16 v6, v18, v12
	v_alignbit_b32 v10, v10, v8, 16
	v_pack_b32_f16 v8, v19, v8
	v_pack_b32_f16 v2, v2, v5
	v_perm_b32 v5, v114, v113, 0x5040100
	ds_store_2addr_b32 v4, v0, v14 offset1:1
	ds_store_2addr_b32 v4, v1, v16 offset0:2 offset1:3
	ds_store_2addr_b32 v4, v9, v7 offset0:4 offset1:5
	;; [unrolled: 1-line block ×3, first 2 shown]
	ds_store_b32 v4, v6 offset:32
	ds_store_2addr_b32 v4, v8, v10 offset0:9 offset1:10
	ds_store_2addr_b32 v4, v2, v5 offset0:11 offset1:12
.LBB0_7:
	s_wait_alu 0xfffe
	s_or_b32 exec_lo, exec_lo, s2
	v_and_b32_e32 v0, 0xff, v252
	v_and_b32_e32 v1, 0xff, v42
	v_add_co_u32 v44, null, 0x82, v252
	global_wb scope:SCOPE_SE
	s_wait_dscnt 0x0
	v_mul_lo_u16 v0, 0x4f, v0
	v_mul_lo_u16 v1, 0x4f, v1
	v_and_b32_e32 v26, 0xff, v44
	s_barrier_signal -1
	s_barrier_wait -1
	v_lshrrev_b16 v31, 10, v0
	v_lshrrev_b16 v30, 10, v1
	global_inv scope:SCOPE_SE
	v_add_co_u32 v46, null, 0xc3, v252
	v_mul_lo_u16 v0, v31, 13
	v_mul_lo_u16 v1, v30, 13
	v_add_co_u32 v45, null, 0x104, v252
	s_delay_alu instid0(VALU_DEP_4) | instskip(NEXT) | instid1(VALU_DEP_4)
	v_and_b32_e32 v28, 0xffff, v46
	v_sub_nc_u16 v0, v252, v0
	s_delay_alu instid0(VALU_DEP_4) | instskip(NEXT) | instid1(VALU_DEP_4)
	v_sub_nc_u16 v1, v42, v1
	v_and_b32_e32 v27, 0xffff, v45
	v_add_nc_u32_e32 v65, 0x400, v83
	v_add_nc_u32_e32 v62, 0x800, v83
	v_and_b32_e32 v34, 0xff, v0
	v_mul_lo_u16 v0, 0x4f, v26
	v_and_b32_e32 v33, 0xff, v1
	v_mul_u32_u24_e32 v2, 0x4ec5, v27
	v_add_nc_u32_e32 v64, 0xc00, v83
	v_lshlrev_b32_e32 v1, 4, v34
	v_lshrrev_b16 v32, 10, v0
	v_lshlrev_b32_e32 v0, 4, v33
	v_lshrrev_b32_e32 v36, 18, v2
	v_add_nc_u32_e32 v63, 0x1400, v83
	global_load_b128 v[8:11], v1, s[0:1]
	v_add_nc_u32_e32 v61, 0x1000, v83
	global_load_b128 v[4:7], v0, s[0:1]
	v_mul_lo_u16 v1, v32, 13
	v_and_b32_e32 v31, 0xffff, v31
	v_and_b32_e32 v30, 0xffff, v30
	s_delay_alu instid0(VALU_DEP_3) | instskip(NEXT) | instid1(VALU_DEP_3)
	v_sub_nc_u16 v0, v44, v1
	v_mul_u32_u24_e32 v31, 0x41, v31
	s_delay_alu instid0(VALU_DEP_3) | instskip(NEXT) | instid1(VALU_DEP_3)
	v_mul_u32_u24_e32 v30, 0x41, v30
	v_and_b32_e32 v35, 0xff, v0
	v_mul_u32_u24_e32 v0, 0x4ec5, v28
	s_delay_alu instid0(VALU_DEP_3) | instskip(NEXT) | instid1(VALU_DEP_3)
	v_add_nc_u32_e32 v30, v30, v33
	v_lshlrev_b32_e32 v1, 4, v35
	s_delay_alu instid0(VALU_DEP_3) | instskip(SKIP_3) | instid1(VALU_DEP_2)
	v_lshrrev_b32_e32 v38, 18, v0
	global_load_b128 v[16:19], v1, s[0:1]
	v_mul_lo_u16 v0, v38, 13
	v_mul_lo_u16 v1, v36, 13
	v_sub_nc_u16 v39, v46, v0
	s_delay_alu instid0(VALU_DEP_2) | instskip(NEXT) | instid1(VALU_DEP_2)
	v_sub_nc_u16 v37, v45, v1
	v_lshlrev_b16 v0, 2, v39
	s_delay_alu instid0(VALU_DEP_2) | instskip(NEXT) | instid1(VALU_DEP_2)
	v_lshlrev_b16 v1, 2, v37
	v_and_b32_e32 v0, 0xffff, v0
	s_delay_alu instid0(VALU_DEP_2) | instskip(NEXT) | instid1(VALU_DEP_2)
	v_and_b32_e32 v1, 0xffff, v1
	v_lshlrev_b32_e32 v0, 2, v0
	s_delay_alu instid0(VALU_DEP_2)
	v_lshlrev_b32_e32 v1, 2, v1
	s_clause 0x1
	global_load_b128 v[12:15], v0, s[0:1]
	global_load_b128 v[0:3], v1, s[0:1]
	ds_load_2addr_b32 v[24:25], v83 offset1:65
	ds_load_2addr_b32 v[22:23], v83 offset0:130 offset1:195
	ds_load_b32 v55, v83 offset:6240
	ds_load_2addr_b32 v[20:21], v65 offset0:4 offset1:69
	ds_load_2addr_b32 v[48:49], v62 offset0:138 offset1:203
	;; [unrolled: 1-line block ×10, first 2 shown]
	global_wb scope:SCOPE_SE
	s_wait_loadcnt_dscnt 0x0
	s_barrier_signal -1
	s_barrier_wait -1
	global_inv scope:SCOPE_SE
	v_lshrrev_b32_e32 v70, 16, v55
	v_lshrrev_b32_e32 v50, 16, v21
	v_lshrrev_b32_e32 v78, 16, v48
	v_lshrrev_b32_e32 v79, 16, v52
	v_lshrrev_b32_e32 v80, 16, v53
	v_lshrrev_b32_e32 v81, 16, v59
	v_lshrrev_b32_e32 v82, 16, v49
	v_lshrrev_b32_e32 v112, 16, v66
	v_lshrrev_b32_e32 v116, 16, v54
	v_lshrrev_b32_e32 v134, 16, v60
	v_lshrrev_b32_e32 v137, 16, v68
	v_lshrrev_b32_e32 v138, 16, v67
	v_lshrrev_b32_e32 v139, 16, v72
	v_lshrrev_b32_e32 v47, 16, v24
	v_lshrrev_b32_e32 v140, 16, v74
	v_lshrrev_b32_e32 v141, 16, v69
	v_lshrrev_b32_e32 v143, 16, v73
	v_lshrrev_b32_e32 v146, 16, v77
	v_lshrrev_b32_e32 v43, 16, v25
	v_lshrrev_b32_e32 v41, 16, v22
	v_lshrrev_b32_e32 v142, 16, v76
	v_lshrrev_b32_e32 v144, 16, v75
	v_lshrrev_b32_e32 v145, 16, v51
	v_lshrrev_b32_e32 v40, 16, v23
	v_lshrrev_b32_e32 v29, 16, v20
	v_lshrrev_b32_e32 v136, 16, v8
	v_lshrrev_b32_e32 v135, 16, v9
	v_lshrrev_b32_e32 v133, 16, v10
	v_lshrrev_b32_e32 v58, 16, v11
	v_lshrrev_b32_e32 v131, 16, v4
	v_lshrrev_b32_e32 v128, 16, v5
	v_lshrrev_b32_e32 v125, 16, v6
	v_lshrrev_b32_e32 v123, 16, v7
	v_mul_f16_e64 v117, v50, v136
	v_mul_f16_e64 v147, v21, v136
	;; [unrolled: 1-line block ×6, first 2 shown]
	v_mul_f16_e32 v121, v80, v58
	v_mul_f16_e64 v150, v53, v58
	v_mul_f16_e64 v124, v81, v131
	;; [unrolled: 1-line block ×8, first 2 shown]
	v_lshrrev_b32_e32 v129, 16, v16
	v_lshrrev_b32_e32 v126, 16, v17
	;; [unrolled: 1-line block ×4, first 2 shown]
	v_mul_f16_e64 v154, v116, v123
	v_fma_f16 v156, v21, v8, -v117
	v_fmac_f16_e64 v147, v50, v8
	v_fma_f16 v157, v48, v9, -v118
	v_fmac_f16_e64 v148, v78, v9
	;; [unrolled: 2-line block ×7, first 2 shown]
	v_fmac_f16_e64 v155, v116, v7
	v_mul_f16_e64 v21, v134, v129
	v_mul_f16_e64 v79, v60, v129
	;; [unrolled: 1-line block ×3, first 2 shown]
	v_mul_f16_e32 v80, v68, v126
	v_mul_f16_e64 v49, v138, v58
	v_mul_f16_e32 v81, v67, v58
	v_mul_f16_e64 v50, v139, v120
	v_mul_f16_e32 v82, v72, v120
	v_lshrrev_b32_e32 v130, 16, v12
	v_lshrrev_b32_e32 v127, 16, v13
	;; [unrolled: 1-line block ×6, first 2 shown]
	v_fma_f16 v54, v54, v7, -v154
	v_lshrrev_b32_e32 v119, 16, v0
	v_lshrrev_b32_e32 v118, 16, v1
	v_fma_f16 v60, v60, v16, -v21
	v_fmac_f16_e64 v79, v134, v16
	v_fma_f16 v68, v68, v17, -v48
	v_fmac_f16_e64 v80, v137, v17
	;; [unrolled: 2-line block ×4, first 2 shown]
	v_mul_f16_e64 v112, v140, v130
	v_mul_f16_e64 v134, v74, v130
	;; [unrolled: 1-line block ×8, first 2 shown]
	v_mul_f16_e32 v50, v55, v116
	v_add_f16_e64 v165, v24, v156
	v_add_f16_e64 v166, v157, v52
	v_sub_f16_e64 v169, v156, v157
	v_sub_f16_e64 v170, v53, v52
	v_add_f16_e64 v171, v156, v53
	v_add_f16_e64 v174, v47, v147
	;; [unrolled: 1-line block ×5, first 2 shown]
	v_mul_f16_e64 v139, v142, v124
	v_mul_f16_e64 v159, v73, v253
	;; [unrolled: 1-line block ×3, first 2 shown]
	v_mul_f16_e32 v21, v75, v119
	v_mul_f16_e64 v162, v145, v118
	v_mul_f16_e32 v48, v51, v118
	v_mul_f16_e32 v49, v77, v117
	v_sub_f16_e64 v167, v147, v150
	v_sub_f16_e64 v168, v148, v149
	;; [unrolled: 1-line block ×7, first 2 shown]
	v_add_f16_e64 v179, v147, v150
	v_sub_f16_e64 v147, v148, v147
	v_sub_f16_e64 v180, v149, v150
	v_add_f16_e64 v181, v25, v59
	v_add_f16_e64 v182, v78, v66
	v_sub_f16_e64 v185, v59, v78
	v_sub_f16_e64 v186, v54, v66
	v_add_f16_e64 v187, v59, v54
	v_add_f16_e64 v190, v43, v151
	v_sub_f16_e64 v192, v78, v66
	v_fma_f16 v69, v69, v13, -v137
	v_fma_f16 v73, v73, v15, -v158
	v_fmac_f16_e64 v134, v140, v12
	v_fmac_f16_e64 v138, v141, v13
	v_fma_f16 v74, v74, v12, -v112
	v_fmac_f16_e64 v154, v142, v14
	v_fma_f16 v77, v77, v2, -v163
	v_fma_f16 v55, v55, v3, -v164
	v_fmac_f16_e32 v50, v70, v3
	v_add_f16_e64 v70, v165, v157
	v_fma_f16 v112, -0.5, v166, v24
	v_add_f16_e64 v137, v169, v170
	v_fma_f16 v24, -0.5, v171, v24
	;; [unrolled: 2-line block ×3, first 2 shown]
	v_fma_f16 v148, -0.5, v191, v43
	v_fmac_f16_e64 v43, -0.5, v195
	v_add_f16_e64 v157, v22, v60
	v_add_f16_e64 v158, v68, v67
	v_sub_f16_e64 v163, v60, v68
	v_sub_f16_e64 v164, v72, v67
	;; [unrolled: 1-line block ×4, first 2 shown]
	v_add_f16_e64 v170, v41, v79
	v_add_f16_e64 v171, v80, v81
	;; [unrolled: 1-line block ×3, first 2 shown]
	v_sub_f16_e64 v156, v156, v53
	v_sub_f16_e64 v184, v152, v153
	v_sub_f16_e64 v188, v78, v59
	v_sub_f16_e32 v59, v59, v54
	v_fma_f16 v76, v76, v14, -v139
	v_fmac_f16_e64 v159, v143, v15
	v_fma_f16 v75, v75, v0, -v161
	v_fmac_f16_e64 v21, v144, v0
	;; [unrolled: 2-line block ×3, first 2 shown]
	v_add_f16_e64 v139, v172, v173
	v_add_f16_e64 v142, v177, v178
	v_fmac_f16_e64 v47, -0.5, v179
	v_add_f16_e64 v143, v147, v180
	v_add_f16_e64 v78, v181, v78
	v_fma_f16 v144, -0.5, v182, v25
	v_add_f16_e64 v145, v185, v186
	v_fmac_f16_e64 v25, -0.5, v187
	v_add_f16_e64 v147, v190, v152
	v_sub_f16_e64 v161, v79, v82
	v_sub_f16_e64 v162, v80, v81
	v_add_f16_e64 v165, v60, v72
	v_sub_f16_e64 v172, v68, v67
	v_sub_f16_e64 v173, v79, v80
	;; [unrolled: 1-line block ×3, first 2 shown]
	v_sub_f16_e32 v79, v80, v79
	v_sub_f16_e64 v177, v81, v82
	v_add_f16_e32 v52, v70, v52
	v_fma_f16 v70, 0x3b9c, v167, v112
	v_fmac_f16_e64 v112, 0xbb9c, v167
	v_add_f16_e64 v140, v140, v149
	v_fma_f16 v181, 0x3b9c, v192, v43
	v_fmac_f16_e64 v43, 0xbb9c, v192
	v_add_f16_e64 v68, v157, v68
	v_fma_f16 v157, -0.5, v158, v22
	v_add_f16_e64 v158, v163, v164
	v_add_f16_e64 v163, v166, v169
	v_add_f16_e64 v80, v170, v80
	v_fma_f16 v164, -0.5, v171, v41
	v_fmac_f16_e64 v41, -0.5, v175
	v_add_f16_e64 v166, v23, v74
	v_add_f16_e64 v186, v138, v154
	v_sub_f16_e64 v183, v151, v155
	v_sub_f16_e64 v189, v66, v54
	;; [unrolled: 1-line block ×4, first 2 shown]
	v_sub_f16_e32 v60, v60, v72
	v_fma_f16 v149, 0xbb9c, v156, v141
	v_fmac_f16_e64 v141, 0x3b9c, v156
	v_fma_f16 v179, 0x3b9c, v176, v47
	v_fmac_f16_e64 v47, 0xbb9c, v176
	;; [unrolled: 2-line block ×3, first 2 shown]
	v_add_f16_e64 v147, v147, v153
	v_fma_f16 v153, 0xbb9c, v59, v148
	v_fmac_f16_e64 v148, 0x3b9c, v59
	v_fma_f16 v22, -0.5, v165, v22
	v_add_f16_e64 v165, v173, v174
	v_add_f16_e64 v79, v79, v177
	;; [unrolled: 1-line block ×3, first 2 shown]
	v_sub_f16_e64 v173, v74, v69
	v_add_f16_e64 v175, v74, v73
	v_sub_f16_e64 v177, v69, v74
	v_add_f16_e64 v185, v40, v134
	v_sub_f16_e32 v74, v74, v73
	v_sub_f16_e64 v187, v69, v76
	v_add_f16_e32 v52, v52, v53
	v_fmac_f16_e64 v70, 0x38b4, v168
	v_fmac_f16_e64 v112, 0xb8b4, v168
	v_add_f16_e64 v53, v140, v150
	v_fmac_f16_e64 v181, 0xb8b4, v59
	v_fmac_f16_e32 v43, 0x38b4, v59
	v_add_f16_e32 v59, v68, v67
	v_add_f16_e32 v80, v80, v81
	v_fma_f16 v140, 0x3b9c, v172, v41
	v_fmac_f16_e64 v41, 0xbb9c, v172
	v_add_f16_e64 v69, v166, v69
	v_fma_f16 v166, -0.5, v186, v40
	v_fmac_f16_e64 v49, v146, v2
	v_add_f16_e64 v146, v188, v189
	v_fma_f16 v178, 0xbb9c, v168, v24
	v_fmac_f16_e64 v24, 0x3b9c, v168
	v_add_f16_e32 v66, v78, v66
	v_fma_f16 v78, 0x3b9c, v183, v144
	v_fmac_f16_e64 v144, 0xbb9c, v183
	v_sub_f16_e64 v170, v134, v159
	v_sub_f16_e64 v171, v138, v154
	;; [unrolled: 1-line block ×4, first 2 shown]
	v_add_f16_e64 v190, v134, v159
	v_fmac_f16_e64 v149, 0xb8b4, v176
	v_fmac_f16_e64 v141, 0x38b4, v176
	;; [unrolled: 1-line block ×6, first 2 shown]
	v_add_f16_e64 v156, v185, v138
	v_fmac_f16_e64 v70, 0x34f2, v137
	v_fmac_f16_e64 v112, 0x34f2, v137
	v_add_f16_e32 v59, v59, v72
	v_add_f16_e32 v72, v80, v82
	v_fmac_f16_e64 v140, 0xb8b4, v60
	v_fmac_f16_e32 v41, 0x38b4, v60
	v_fma_f16 v82, 0xbb9c, v74, v166
	v_fmac_f16_e64 v166, 0x3b9c, v74
	v_sub_f16_e64 v134, v138, v134
	v_sub_f16_e64 v137, v154, v159
	v_add_f16_e64 v138, v51, v77
	v_fmac_f16_e64 v178, 0x38b4, v167
	v_fmac_f16_e64 v24, 0xb8b4, v167
	v_add_f16_e32 v54, v66, v54
	v_fmac_f16_e64 v78, 0x38b4, v184
	v_fmac_f16_e64 v144, 0xb8b4, v184
	v_add_f16_e64 v66, v147, v155
	v_fma_f16 v81, 0xbb9c, v60, v164
	v_fmac_f16_e64 v164, 0x3b9c, v60
	v_fma_f16 v147, -0.5, v169, v23
	v_fmac_f16_e64 v149, 0x34f2, v142
	v_fmac_f16_e64 v141, 0x34f2, v142
	;; [unrolled: 1-line block ×4, first 2 shown]
	v_add_f16_e32 v60, v69, v76
	v_add_f16_e64 v80, v156, v154
	v_fmac_f16_e64 v140, 0x34f2, v79
	v_fmac_f16_e32 v41, 0x34f2, v79
	v_fmac_f16_e64 v40, -0.5, v190
	v_fmac_f16_e64 v82, 0xb8b4, v187
	v_add_f16_e64 v79, v188, v189
	v_fmac_f16_e64 v166, 0x38b4, v187
	v_add_f16_e64 v134, v134, v137
	v_add_f16_e64 v137, v20, v75
	v_fma_f16 v142, -0.5, v138, v20
	v_sub_f16_e64 v138, v21, v50
	v_add_f16_e64 v146, v75, v55
	v_sub_f16_e64 v174, v73, v76
	v_sub_f16_e64 v182, v76, v73
	v_fmac_f16_e64 v178, 0x34f2, v139
	v_fmac_f16_e64 v24, 0x34f2, v139
	;; [unrolled: 1-line block ×6, first 2 shown]
	v_fma_f16 v69, 0x3b9c, v170, v147
	v_fmac_f16_e64 v147, 0xbb9c, v170
	v_add_f16_e32 v60, v60, v73
	v_add_f16_e64 v73, v80, v159
	v_fma_f16 v80, 0x3b9c, v187, v40
	v_fmac_f16_e32 v82, 0x34f2, v79
	v_fmac_f16_e64 v166, 0x34f2, v79
	v_fmac_f16_e64 v40, 0xbb9c, v187
	v_add_f16_e64 v79, v137, v51
	v_fma_f16 v143, 0x3b9c, v138, v142
	v_sub_f16_e64 v137, v48, v49
	v_sub_f16_e64 v139, v75, v51
	;; [unrolled: 1-line block ×3, first 2 shown]
	v_fmac_f16_e64 v20, -0.5, v146
	v_fmac_f16_e64 v142, 0xbb9c, v138
	v_add_f16_e64 v146, v29, v21
	v_add_f16_e64 v150, v173, v174
	v_fmac_f16_e64 v69, 0x38b4, v171
	v_fmac_f16_e64 v147, 0xb8b4, v171
	v_fmac_f16_e32 v80, 0xb8b4, v74
	v_fmac_f16_e32 v40, 0x38b4, v74
	v_add_f16_e32 v74, v79, v77
	v_fmac_f16_e64 v143, 0x38b4, v137
	v_add_f16_e64 v79, v139, v145
	v_fma_f16 v145, 0xbb9c, v137, v20
	v_fmac_f16_e64 v142, 0xb8b4, v137
	v_fmac_f16_e64 v20, 0x3b9c, v137
	v_add_f16_e64 v137, v146, v48
	v_fmac_f16_e64 v69, 0x34f2, v150
	v_fmac_f16_e64 v147, 0x34f2, v150
	;; [unrolled: 1-line block ×4, first 2 shown]
	v_add_f16_e32 v74, v74, v55
	v_sub_f16_e64 v134, v51, v75
	v_sub_f16_e64 v139, v77, v55
	v_add_f16_e64 v150, v48, v49
	v_sub_f16_e32 v55, v75, v55
	v_add_f16_e64 v75, v137, v49
	v_add_f16_e64 v137, v21, v50
	v_sub_f16_e32 v51, v51, v77
	v_fma_f16 v146, -0.5, v150, v29
	v_sub_f16_e32 v77, v21, v48
	v_sub_f16_e32 v21, v48, v21
	v_fmac_f16_e64 v29, -0.5, v137
	v_sub_f16_e32 v48, v49, v50
	v_fmac_f16_e64 v145, 0x38b4, v138
	v_add_f16_e64 v134, v134, v139
	v_fmac_f16_e64 v20, 0xb8b4, v138
	v_fma_f16 v150, 0x3b9c, v51, v29
	v_fmac_f16_e32 v29, 0xbb9c, v51
	v_add_f16_e32 v21, v21, v48
	v_fmac_f16_e64 v145, 0x34f2, v134
	v_fmac_f16_e64 v20, 0x34f2, v134
	;; [unrolled: 1-line block ×3, first 2 shown]
	v_fmac_f16_e32 v29, 0x38b4, v55
	v_sub_f16_e64 v193, v151, v152
	v_sub_f16_e64 v151, v152, v151
	v_fma_f16 v67, 0x3b9c, v161, v157
	v_fmac_f16_e64 v150, 0x34f2, v21
	v_fmac_f16_e32 v29, 0x34f2, v21
	v_add_nc_u32_e32 v21, v31, v34
	v_pack_b32_f16 v31, v70, v149
	v_add_f16_e64 v152, v193, v194
	v_fmac_f16_e64 v153, 0xb8b4, v192
	v_add_f16_e64 v151, v151, v196
	v_lshl_add_u32 v134, v21, 2, v87
	v_pack_b32_f16 v21, v52, v53
	v_fmac_f16_e64 v148, 0x38b4, v192
	v_fmac_f16_e64 v67, 0x38b4, v162
	;; [unrolled: 1-line block ×3, first 2 shown]
	v_pack_b32_f16 v34, v178, v179
	ds_store_2addr_b32 v134, v21, v31 offset1:13
	v_and_b32_e32 v21, 0xffff, v32
	v_pack_b32_f16 v24, v24, v47
	v_fma_f16 v68, 0xbb9c, v162, v22
	v_fmac_f16_e64 v22, 0x3b9c, v162
	v_fmac_f16_e64 v153, 0x34f2, v152
	v_mul_u32_u24_e32 v21, 0x41, v21
	v_fmac_f16_e64 v157, 0xbb9c, v161
	v_fmac_f16_e64 v23, -0.5, v175
	v_fmac_f16_e64 v181, 0x34f2, v151
	v_fmac_f16_e64 v43, 0x34f2, v151
	;; [unrolled: 1-line block ×5, first 2 shown]
	v_sub_f16_e64 v138, v50, v49
	ds_store_2addr_b32 v134, v34, v24 offset0:26 offset1:39
	v_pack_b32_f16 v24, v112, v141
	v_add_nc_u32_e32 v21, v21, v35
	v_fmac_f16_e64 v68, 0x38b4, v161
	v_fmac_f16_e64 v22, 0xb8b4, v161
	v_lshl_add_u32 v137, v30, 2, v87
	v_pack_b32_f16 v30, v54, v66
	v_pack_b32_f16 v31, v78, v153
	v_fmac_f16_e64 v157, 0xb8b4, v162
	v_fmac_f16_e64 v164, 0x38b4, v172
	v_fma_f16 v76, 0xbb9c, v171, v23
	v_fmac_f16_e64 v23, 0x3b9c, v171
	v_pack_b32_f16 v32, v180, v181
	v_pack_b32_f16 v25, v25, v43
	;; [unrolled: 1-line block ×3, first 2 shown]
	v_fmac_f16_e64 v143, 0x34f2, v79
	v_fmac_f16_e64 v142, 0x34f2, v79
	v_fma_f16 v79, 0xbb9c, v55, v146
	v_add_f16_e64 v77, v77, v138
	ds_store_b32 v134, v24 offset:208
	ds_store_2addr_b32 v137, v30, v31 offset1:13
	ds_store_2addr_b32 v137, v32, v25 offset0:26 offset1:39
	ds_store_b32 v137, v33 offset:208
	v_lshl_add_u32 v138, v21, 2, v87
	v_pack_b32_f16 v21, v59, v72
	v_pack_b32_f16 v25, v67, v81
	v_fmac_f16_e64 v68, 0x34f2, v163
	v_fmac_f16_e64 v22, 0x34f2, v163
	v_mad_u16 v24, 0x41, v38, v39
	v_add_f16_e64 v155, v177, v182
	v_fmac_f16_e64 v157, 0x34f2, v158
	v_fmac_f16_e64 v164, 0x34f2, v165
	;; [unrolled: 1-line block ×4, first 2 shown]
	v_fmac_f16_e32 v79, 0xb8b4, v51
	ds_store_2addr_b32 v138, v21, v25 offset1:13
	v_mad_u16 v21, 0x41, v36, v37
	v_pack_b32_f16 v30, v68, v140
	v_pack_b32_f16 v22, v22, v41
	v_and_b32_e32 v24, 0xffff, v24
	v_fmac_f16_e64 v76, 0x34f2, v155
	v_fmac_f16_e64 v23, 0x34f2, v155
	v_pack_b32_f16 v31, v157, v164
	v_add_f16_e32 v75, v75, v50
	v_fmac_f16_e32 v79, 0x34f2, v77
	v_and_b32_e32 v21, 0xffff, v21
	ds_store_2addr_b32 v138, v30, v22 offset0:26 offset1:39
	ds_store_b32 v138, v31 offset:208
	v_lshl_add_u32 v139, v24, 2, v87
	v_pack_b32_f16 v22, v60, v73
	v_pack_b32_f16 v24, v69, v82
	;; [unrolled: 1-line block ×5, first 2 shown]
	v_lshl_add_u32 v140, v21, 2, v87
	v_pack_b32_f16 v21, v74, v75
	v_pack_b32_f16 v31, v143, v79
	ds_store_2addr_b32 v139, v22, v24 offset1:13
	ds_store_2addr_b32 v139, v25, v23 offset0:26 offset1:39
	v_mul_lo_u16 v22, 0xfd, v26
	ds_store_b32 v139, v30 offset:208
	ds_store_2addr_b32 v140, v21, v31 offset1:13
	v_mul_u32_u24_e32 v21, 0xfc1, v28
	v_mul_u32_u24_e32 v24, 0xfc1, v27
	v_lshrrev_b16 v22, 14, v22
	v_pack_b32_f16 v23, v145, v150
	v_pack_b32_f16 v20, v20, v29
	v_lshrrev_b32_e32 v21, 18, v21
	v_lshrrev_b32_e32 v24, 18, v24
	v_mul_lo_u16 v22, 0x41, v22
	v_fmac_f16_e64 v146, 0x3b9c, v55
	ds_store_2addr_b32 v140, v23, v20 offset0:26 offset1:39
	v_mul_lo_u16 v20, 0x41, v21
	v_lshlrev_b32_e32 v43, 4, v252
	v_sub_nc_u16 v21, v44, v22
	v_mul_lo_u16 v22, 0x41, v24
	v_fmac_f16_e64 v146, 0x38b4, v51
	v_sub_nc_u16 v48, v46, v20
	v_lshlrev_b32_e32 v44, 4, v44
	v_and_b32_e32 v49, 0xff, v21
	v_sub_nc_u16 v47, v45, v22
	v_fmac_f16_e64 v146, 0x34f2, v77
	v_lshlrev_b16 v20, 4, v48
	s_delay_alu instid0(VALU_DEP_4) | instskip(NEXT) | instid1(VALU_DEP_4)
	v_lshlrev_b32_e32 v21, 4, v49
	v_lshlrev_b16 v22, 4, v47
	s_delay_alu instid0(VALU_DEP_4) | instskip(NEXT) | instid1(VALU_DEP_4)
	v_pack_b32_f16 v25, v142, v146
	v_and_b32_e32 v20, 0xffff, v20
	s_delay_alu instid0(VALU_DEP_3)
	v_and_b32_e32 v22, 0xffff, v22
	ds_store_b32 v140, v25 offset:208
	v_add_co_u32 v20, s2, s0, v20
	global_wb scope:SCOPE_SE
	s_wait_dscnt 0x0
	s_barrier_signal -1
	s_barrier_wait -1
	global_inv scope:SCOPE_SE
	s_clause 0x1
	global_load_b128 v[32:35], v43, s[0:1] offset:208
	global_load_b128 v[28:31], v21, s[0:1] offset:208
	s_wait_alu 0xf1ff
	v_add_co_ci_u32_e64 v21, null, s1, 0, s2
	v_add_co_u32 v22, s2, s0, v22
	s_wait_alu 0xf1ff
	v_add_co_ci_u32_e64 v23, null, s1, 0, s2
	s_clause 0x1
	global_load_b128 v[24:27], v[20:21], off offset:208
	global_load_b128 v[20:23], v[22:23], off offset:208
	ds_load_2addr_b32 v[40:41], v83 offset1:65
	ds_load_2addr_b32 v[36:37], v65 offset0:4 offset1:69
	ds_load_2addr_b32 v[67:68], v62 offset0:138 offset1:203
	;; [unrolled: 1-line block ×11, first 2 shown]
	ds_load_b32 v82, v83 offset:6240
	global_wb scope:SCOPE_SE
	s_wait_loadcnt_dscnt 0x0
	s_barrier_signal -1
	s_barrier_wait -1
	global_inv scope:SCOPE_SE
	v_lshrrev_b32_e32 v54, 16, v40
	v_lshrrev_b32_e32 v112, 16, v37
	;; [unrolled: 1-line block ×30, first 2 shown]
	v_mul_f16_e64 v181, v112, v157
	v_mul_f16_e64 v182, v37, v157
	;; [unrolled: 1-line block ×5, first 2 shown]
	v_lshrrev_b32_e32 v144, 16, v20
	v_lshrrev_b32_e32 v143, 16, v21
	;; [unrolled: 1-line block ×8, first 2 shown]
	v_mul_f16_e64 v184, v67, v155
	v_mul_f16_e64 v186, v70, v154
	;; [unrolled: 1-line block ×8, first 2 shown]
	v_fma_f16 v183, v67, v33, -v183
	v_fma_f16 v72, v72, v35, -v187
	v_fmac_f16_e64 v182, v112, v32
	v_fma_f16 v112, v37, v32, -v181
	v_fma_f16 v70, v70, v34, -v185
	v_lshrrev_b32_e32 v151, 16, v29
	v_lshrrev_b32_e32 v147, 16, v25
	v_mul_f16_e64 v189, v165, v157
	v_mul_f16_e64 v192, v68, v155
	;; [unrolled: 1-line block ×14, first 2 shown]
	v_fma_f16 v191, v68, v33, -v191
	v_fmac_f16_e64 v184, v156, v33
	v_fmac_f16_e64 v186, v163, v34
	;; [unrolled: 1-line block ×4, first 2 shown]
	v_fma_f16 v68, v159, v20, -v213
	v_fma_f16 v37, v69, v21, -v214
	;; [unrolled: 1-line block ×3, first 2 shown]
	v_add_f16_e32 v82, v40, v112
	v_add_f16_e64 v159, v183, v70
	v_add_f16_e64 v165, v112, v72
	v_lshrrev_b32_e32 v145, 16, v27
	v_mul_f16_e64 v196, v73, v153
	v_mul_f16_e64 v197, v169, v152
	;; [unrolled: 1-line block ×8, first 2 shown]
	v_fma_f16 v76, v76, v34, -v193
	v_fmac_f16_e64 v192, v166, v33
	v_fmac_f16_e64 v194, v167, v34
	;; [unrolled: 1-line block ×5, first 2 shown]
	v_fma_f16 v156, v158, v24, -v206
	v_fmac_f16_e64 v208, v173, v24
	v_fma_f16 v158, v161, v26, -v209
	v_fma_f16 v67, v162, v22, -v215
	v_sub_f16_e64 v161, v182, v188
	v_sub_f16_e64 v162, v184, v186
	;; [unrolled: 1-line block ×6, first 2 shown]
	v_add_f16_e64 v169, v184, v186
	v_sub_f16_e64 v171, v182, v184
	v_sub_f16_e64 v172, v188, v186
	v_add_f16_e64 v173, v182, v188
	v_add_f16_e64 v82, v82, v183
	v_fma_f16 v159, -0.5, v159, v40
	v_fma_f16 v40, -0.5, v165, v40
	v_mul_f16_e64 v195, v168, v153
	v_mul_f16_e64 v199, v170, v151
	;; [unrolled: 1-line block ×4, first 2 shown]
	v_fma_f16 v74, v74, v32, -v189
	v_fmac_f16_e64 v196, v168, v35
	v_fmac_f16_e64 v200, v170, v29
	;; [unrolled: 1-line block ×5, first 2 shown]
	v_add_f16_e64 v168, v54, v182
	v_sub_f16_e32 v112, v112, v72
	v_sub_f16_e64 v170, v183, v70
	v_sub_f16_e64 v174, v184, v182
	;; [unrolled: 1-line block ×3, first 2 shown]
	v_add_f16_e64 v177, v191, v76
	v_add_f16_e64 v163, v163, v164
	;; [unrolled: 1-line block ×3, first 2 shown]
	v_fma_f16 v166, -0.5, v169, v54
	v_add_f16_e64 v167, v171, v172
	v_fmac_f16_e64 v54, -0.5, v173
	v_add_f16_e32 v70, v82, v70
	v_fma_f16 v82, 0x3b9c, v161, v159
	v_fmac_f16_e64 v159, 0xbb9c, v161
	v_fma_f16 v172, 0xbb9c, v162, v40
	v_fmac_f16_e64 v40, 0x3b9c, v162
	v_mul_f16_e64 v211, v176, v145
	v_fma_f16 v73, v73, v35, -v195
	v_fmac_f16_e64 v212, v176, v27
	v_fmac_f16_e64 v59, v178, v21
	v_add_f16_e64 v176, v41, v74
	v_sub_f16_e64 v178, v190, v196
	v_add_f16_e64 v165, v168, v184
	v_add_f16_e64 v168, v174, v175
	v_fma_f16 v171, -0.5, v177, v41
	v_fma_f16 v173, 0xbb9c, v112, v166
	v_fmac_f16_e64 v166, 0x3b9c, v112
	v_fma_f16 v174, 0x3b9c, v170, v54
	v_fmac_f16_e64 v54, 0xbb9c, v170
	v_fmac_f16_e64 v82, 0x38b4, v162
	;; [unrolled: 1-line block ×5, first 2 shown]
	v_add_f16_e64 v169, v176, v191
	v_add_f16_e64 v165, v165, v186
	v_fma_f16 v175, 0x3b9c, v178, v171
	v_fmac_f16_e64 v173, 0xb8b4, v170
	v_fmac_f16_e64 v166, 0x38b4, v170
	;; [unrolled: 1-line block ×7, first 2 shown]
	v_sub_f16_e64 v161, v192, v194
	v_sub_f16_e64 v162, v74, v191
	;; [unrolled: 1-line block ×3, first 2 shown]
	v_add_f16_e64 v164, v74, v73
	v_fmac_f16_e32 v54, 0x38b4, v112
	v_fmac_f16_e64 v171, 0xbb9c, v178
	v_add_f16_e32 v70, v70, v72
	v_add_f16_e64 v72, v165, v188
	v_fmac_f16_e64 v173, 0x34f2, v167
	v_fmac_f16_e64 v166, 0x34f2, v167
	;; [unrolled: 1-line block ×3, first 2 shown]
	v_add_f16_e64 v112, v169, v76
	v_fmac_f16_e64 v175, 0x38b4, v161
	v_add_f16_e64 v162, v162, v163
	v_fmac_f16_e64 v41, -0.5, v164
	v_fmac_f16_e64 v54, 0x34f2, v168
	v_sub_f16_e64 v164, v191, v74
	v_sub_f16_e64 v165, v76, v73
	v_fmac_f16_e64 v171, 0xb8b4, v161
	v_add_f16_e64 v167, v53, v190
	v_add_f16_e64 v168, v192, v194
	v_fma_f16 v77, v77, v30, -v201
	v_fma_f16 v78, v78, v29, -v199
	v_add_f16_e32 v112, v112, v73
	v_fmac_f16_e64 v175, 0x34f2, v162
	v_fma_f16 v163, 0xbb9c, v161, v41
	v_add_f16_e64 v164, v164, v165
	v_fmac_f16_e64 v41, 0x3b9c, v161
	v_add_f16_e64 v161, v167, v192
	v_fma_f16 v165, -0.5, v168, v53
	v_sub_f16_e32 v73, v74, v73
	v_fmac_f16_e64 v171, 0x34f2, v162
	v_add_f16_e64 v162, v190, v196
	v_sub_f16_e64 v167, v190, v192
	v_sub_f16_e64 v168, v196, v194
	v_fma_f16 v75, v75, v28, -v197
	v_fma_f16 v80, v80, v31, -v203
	v_fmac_f16_e64 v163, 0x38b4, v178
	v_fmac_f16_e64 v41, 0xb8b4, v178
	v_add_f16_e64 v74, v161, v194
	v_fma_f16 v161, 0xbb9c, v73, v165
	v_sub_f16_e64 v76, v191, v76
	v_fmac_f16_e64 v53, -0.5, v162
	v_add_f16_e64 v162, v167, v168
	v_fmac_f16_e64 v165, 0x3b9c, v73
	v_sub_f16_e64 v167, v192, v190
	v_sub_f16_e64 v168, v194, v196
	v_add_f16_e64 v169, v78, v77
	v_fmac_f16_e64 v163, 0x34f2, v164
	v_fmac_f16_e64 v41, 0x34f2, v164
	;; [unrolled: 1-line block ×3, first 2 shown]
	v_fma_f16 v164, 0x3b9c, v76, v53
	v_fmac_f16_e64 v165, 0x38b4, v76
	v_add_f16_e64 v167, v167, v168
	v_add_f16_e64 v168, v38, v75
	v_fma_f16 v169, -0.5, v169, v38
	v_sub_f16_e64 v170, v198, v205
	v_fmac_f16_e32 v53, 0xbb9c, v76
	v_add_f16_e64 v178, v75, v80
	v_fmac_f16_e64 v161, 0x34f2, v162
	v_fmac_f16_e64 v164, 0xb8b4, v73
	;; [unrolled: 1-line block ×3, first 2 shown]
	v_add_f16_e64 v76, v168, v78
	v_fma_f16 v162, 0x3b9c, v170, v169
	v_sub_f16_e64 v168, v200, v202
	v_sub_f16_e64 v176, v75, v78
	;; [unrolled: 1-line block ×3, first 2 shown]
	v_fmac_f16_e32 v53, 0x38b4, v73
	v_fma_f16 v38, -0.5, v178, v38
	v_fmac_f16_e64 v169, 0xbb9c, v170
	v_add_f16_e64 v178, v52, v198
	v_fmac_f16_e64 v164, 0x34f2, v167
	v_add_f16_e32 v73, v76, v77
	v_fmac_f16_e64 v162, 0x38b4, v168
	v_add_f16_e64 v76, v176, v177
	v_fmac_f16_e64 v53, 0x34f2, v167
	v_fma_f16 v167, 0xbb9c, v168, v38
	v_sub_f16_e64 v176, v78, v75
	v_sub_f16_e64 v177, v77, v80
	v_fmac_f16_e64 v169, 0xb8b4, v168
	v_fmac_f16_e64 v38, 0x3b9c, v168
	v_add_f16_e64 v168, v178, v200
	v_fmac_f16_e64 v66, v179, v22
	v_fmac_f16_e64 v162, 0x34f2, v76
	v_add_f16_e64 v179, v200, v202
	v_fmac_f16_e64 v167, 0x38b4, v170
	v_add_f16_e64 v176, v176, v177
	v_fmac_f16_e64 v169, 0x34f2, v76
	v_fmac_f16_e64 v38, 0xb8b4, v170
	v_add_f16_e64 v76, v168, v202
	v_add_f16_e64 v168, v198, v205
	v_sub_f16_e32 v77, v78, v77
	v_sub_f16_e64 v78, v198, v200
	v_sub_f16_e64 v170, v205, v202
	v_fma_f16 v79, v79, v25, -v204
	v_fma_f16 v81, v81, v27, -v211
	v_fma_f16 v177, -0.5, v179, v52
	v_sub_f16_e32 v75, v75, v80
	v_fmac_f16_e64 v167, 0x34f2, v176
	v_fmac_f16_e64 v38, 0x34f2, v176
	v_fmac_f16_e64 v52, -0.5, v168
	v_add_f16_e64 v78, v78, v170
	v_sub_f16_e64 v170, v200, v198
	v_sub_f16_e64 v176, v202, v205
	v_add_f16_e32 v73, v73, v80
	v_fma_f16 v80, 0xbb9c, v75, v177
	v_fmac_f16_e64 v177, 0x3b9c, v75
	v_fma_f16 v168, 0x3b9c, v77, v52
	v_add_f16_e64 v178, v79, v158
	v_add_f16_e64 v170, v170, v176
	;; [unrolled: 1-line block ×3, first 2 shown]
	v_fmac_f16_e32 v52, 0xbb9c, v77
	v_add_f16_e64 v182, v156, v81
	v_fmac_f16_e64 v60, v180, v23
	v_fmac_f16_e32 v80, 0xb8b4, v77
	v_fmac_f16_e64 v177, 0x38b4, v77
	v_fmac_f16_e64 v168, 0xb8b4, v75
	v_fma_f16 v178, -0.5, v178, v39
	v_sub_f16_e64 v179, v208, v212
	v_add_f16_e64 v77, v176, v79
	v_sub_f16_e64 v176, v207, v210
	v_sub_f16_e64 v180, v156, v79
	;; [unrolled: 1-line block ×3, first 2 shown]
	v_fmac_f16_e32 v52, 0x38b4, v75
	v_fmac_f16_e64 v39, -0.5, v182
	v_fmac_f16_e32 v80, 0x34f2, v78
	v_fmac_f16_e64 v177, 0x34f2, v78
	v_fmac_f16_e64 v168, 0x34f2, v170
	v_fma_f16 v78, 0x3b9c, v179, v178
	v_add_f16_e64 v75, v77, v158
	v_add_f16_e64 v77, v180, v181
	v_fmac_f16_e64 v52, 0x34f2, v170
	v_fmac_f16_e64 v178, 0xbb9c, v179
	v_fma_f16 v170, 0xbb9c, v176, v39
	v_sub_f16_e64 v180, v79, v156
	v_sub_f16_e64 v181, v158, v81
	v_add_f16_e64 v182, v51, v208
	v_add_f16_e64 v183, v207, v210
	v_fmac_f16_e64 v39, 0x3b9c, v176
	v_fmac_f16_e64 v78, 0x38b4, v176
	v_add_f16_e32 v75, v75, v81
	v_fmac_f16_e64 v178, 0xb8b4, v176
	v_fmac_f16_e64 v170, 0x38b4, v179
	v_add_f16_e64 v180, v180, v181
	v_add_f16_e64 v176, v182, v207
	v_fma_f16 v181, -0.5, v183, v51
	v_sub_f16_e64 v81, v156, v81
	v_fmac_f16_e64 v39, 0xb8b4, v179
	v_add_f16_e64 v156, v208, v212
	v_sub_f16_e64 v79, v79, v158
	v_sub_f16_e64 v158, v208, v207
	;; [unrolled: 1-line block ×3, first 2 shown]
	v_fmac_f16_e32 v78, 0x34f2, v77
	v_fmac_f16_e64 v178, 0x34f2, v77
	v_fmac_f16_e64 v170, 0x34f2, v180
	v_add_f16_e64 v77, v176, v210
	v_fma_f16 v176, 0xbb9c, v81, v181
	v_fmac_f16_e64 v39, 0x34f2, v180
	v_fmac_f16_e64 v51, -0.5, v156
	v_add_f16_e64 v156, v158, v179
	v_fmac_f16_e64 v181, 0x3b9c, v81
	v_sub_f16_e64 v158, v207, v208
	v_sub_f16_e64 v180, v210, v212
	v_add_f16_e64 v182, v37, v67
	v_fmac_f16_e64 v176, 0xb8b4, v79
	v_fma_f16 v179, 0x3b9c, v79, v51
	v_fmac_f16_e64 v181, 0x38b4, v79
	v_add_f16_e64 v158, v158, v180
	v_fmac_f16_e32 v51, 0xbb9c, v79
	v_fma_f16 v180, -0.5, v182, v36
	v_sub_f16_e64 v182, v55, v60
	v_fmac_f16_e64 v176, 0x34f2, v156
	v_fmac_f16_e64 v179, 0xb8b4, v81
	v_add_f16_e32 v79, v36, v68
	v_fmac_f16_e64 v181, 0x34f2, v156
	v_fmac_f16_e32 v51, 0x38b4, v81
	v_fma_f16 v81, 0x3b9c, v182, v180
	v_sub_f16_e64 v156, v59, v66
	v_sub_f16_e64 v183, v68, v37
	;; [unrolled: 1-line block ×3, first 2 shown]
	v_fmac_f16_e64 v180, 0xbb9c, v182
	v_add_f16_e64 v185, v68, v69
	v_fmac_f16_e64 v179, 0x34f2, v158
	v_add_f16_e32 v79, v79, v37
	v_fmac_f16_e64 v81, 0x38b4, v156
	v_add_f16_e64 v183, v183, v184
	v_fmac_f16_e64 v180, 0xb8b4, v156
	v_fmac_f16_e64 v36, -0.5, v185
	v_fmac_f16_e64 v51, 0x34f2, v158
	v_add_f16_e64 v158, v59, v66
	v_add_f16_e32 v79, v79, v67
	v_fmac_f16_e64 v81, 0x34f2, v183
	v_fmac_f16_e64 v180, 0x34f2, v183
	v_fma_f16 v183, 0xbb9c, v156, v36
	v_sub_f16_e64 v184, v37, v68
	v_sub_f16_e64 v185, v67, v69
	v_fmac_f16_e64 v36, 0x3b9c, v156
	v_fma_f16 v186, -0.5, v158, v50
	v_add_f16_e64 v158, v55, v60
	v_add_f16_e32 v79, v79, v69
	v_add_f16_e64 v156, v50, v55
	v_sub_f16_e32 v68, v68, v69
	v_fmac_f16_e64 v183, 0x38b4, v182
	v_add_f16_e64 v69, v184, v185
	v_fmac_f16_e64 v36, 0xb8b4, v182
	v_sub_f16_e32 v37, v37, v67
	v_fmac_f16_e64 v50, -0.5, v158
	v_add_f16_e64 v156, v156, v59
	v_fma_f16 v182, 0xbb9c, v68, v186
	v_fmac_f16_e64 v183, 0x34f2, v69
	v_fmac_f16_e32 v36, 0x34f2, v69
	v_sub_f16_e32 v69, v55, v59
	v_fmac_f16_e64 v186, 0x3b9c, v68
	v_fma_f16 v184, 0x3b9c, v37, v50
	v_sub_f16_e32 v55, v59, v55
	v_sub_f16_e32 v59, v66, v60
	v_fmac_f16_e32 v50, 0xbb9c, v37
	v_fmac_f16_e64 v182, 0xb8b4, v37
	v_fmac_f16_e64 v186, 0x38b4, v37
	;; [unrolled: 1-line block ×3, first 2 shown]
	v_add_f16_e32 v37, v55, v59
	v_fmac_f16_e32 v50, 0x38b4, v68
	v_add_f16_e64 v67, v156, v66
	v_sub_f16_e64 v156, v60, v66
	v_pack_b32_f16 v59, v82, v173
	v_fmac_f16_e64 v184, 0x34f2, v37
	v_fmac_f16_e32 v50, 0x34f2, v37
	v_pack_b32_f16 v37, v70, v72
	v_add_f16_e64 v74, v74, v196
	v_add_f16_e64 v66, v69, v156
	;; [unrolled: 1-line block ×3, first 2 shown]
	v_pack_b32_f16 v40, v40, v54
	ds_store_2addr_b32 v83, v37, v59 offset1:65
	v_pack_b32_f16 v37, v172, v174
	v_pack_b32_f16 v41, v41, v53
	;; [unrolled: 1-line block ×3, first 2 shown]
	v_lshl_add_u32 v156, v49, 2, v87
	v_pack_b32_f16 v54, v159, v166
	v_pack_b32_f16 v59, v112, v74
	v_add_f16_e32 v55, v67, v60
	v_fmac_f16_e64 v182, 0x34f2, v66
	v_fmac_f16_e64 v186, 0x34f2, v66
	v_pack_b32_f16 v60, v175, v161
	v_pack_b32_f16 v66, v163, v164
	ds_store_2addr_b32 v83, v37, v40 offset0:130 offset1:195
	ds_store_2addr_b32 v65, v54, v59 offset0:4 offset1:69
	;; [unrolled: 1-line block ×4, first 2 shown]
	v_and_b32_e32 v37, 0xffff, v48
	v_pack_b32_f16 v40, v73, v76
	v_pack_b32_f16 v41, v162, v80
	v_add_nc_u32_e32 v48, 0x800, v156
	v_pack_b32_f16 v49, v167, v168
	v_lshl_add_u32 v158, v37, 2, v87
	v_pack_b32_f16 v37, v38, v52
	v_add_nc_u32_e32 v38, 0xc00, v156
	ds_store_2addr_b32 v48, v40, v41 offset0:138 offset1:203
	v_and_b32_e32 v40, 0xffff, v47
	v_add_f16_e64 v77, v77, v212
	v_pack_b32_f16 v39, v39, v51
	ds_store_2addr_b32 v38, v49, v37 offset0:12 offset1:77
	v_pack_b32_f16 v38, v170, v179
	v_lshl_add_u32 v159, v40, 2, v87
	v_add_nc_u32_e32 v40, 0x1000, v158
	v_pack_b32_f16 v52, v75, v77
	v_pack_b32_f16 v53, v78, v176
	v_add_nc_u32_e32 v54, 0xe00, v158
	v_pack_b32_f16 v41, v79, v55
	v_pack_b32_f16 v47, v81, v182
	;; [unrolled: 3-line block ×3, first 2 shown]
	v_pack_b32_f16 v37, v169, v177
	ds_store_2addr_b32 v40, v38, v39 offset0:81 offset1:146
	v_pack_b32_f16 v38, v178, v181
	v_pack_b32_f16 v39, v180, v186
	ds_store_2addr_b32 v54, v52, v53 offset0:79 offset1:144
	ds_store_2addr_b32 v48, v41, v47 offset0:20 offset1:85
	;; [unrolled: 1-line block ×3, first 2 shown]
	ds_store_b32 v156, v37 offset:3640
	ds_store_b32 v158, v38 offset:4940
	;; [unrolled: 1-line block ×3, first 2 shown]
	v_lshlrev_b32_e32 v36, 4, v42
	global_wb scope:SCOPE_SE
	s_wait_dscnt 0x0
	s_barrier_signal -1
	s_barrier_wait -1
	global_inv scope:SCOPE_SE
	s_clause 0x2
	global_load_b128 v[40:43], v43, s[0:1] offset:1248
	global_load_b128 v[36:39], v36, s[0:1] offset:1248
	;; [unrolled: 1-line block ×3, first 2 shown]
	v_lshlrev_b32_e32 v44, 4, v46
	global_load_b128 v[48:51], v44, s[0:1] offset:1248
	v_lshlrev_b32_e32 v44, 4, v45
	global_load_b128 v[44:47], v44, s[0:1] offset:1248
	ds_load_2addr_b32 v[67:68], v83 offset1:65
	ds_load_2addr_b32 v[59:60], v65 offset0:4 offset1:69
	ds_load_2addr_b32 v[69:70], v62 offset0:138 offset1:203
	;; [unrolled: 1-line block ×6, first 2 shown]
	s_add_nc_u64 s[0:1], s[12:13], 0x1964
	s_wait_dscnt 0x6
	v_lshrrev_b32_e32 v72, 16, v67
	s_wait_dscnt 0x5
	v_lshrrev_b32_e32 v65, 16, v60
	;; [unrolled: 2-line block ×4, first 2 shown]
	v_lshrrev_b32_e32 v170, 16, v70
	s_wait_dscnt 0x2
	v_lshrrev_b32_e32 v82, 16, v75
	s_wait_dscnt 0x0
	v_lshrrev_b32_e32 v171, 16, v79
	v_lshrrev_b32_e32 v112, 16, v77
	;; [unrolled: 1-line block ×4, first 2 shown]
	s_wait_loadcnt 0x4
	v_lshrrev_b32_e32 v167, 16, v41
	v_lshrrev_b32_e32 v166, 16, v42
	;; [unrolled: 1-line block ×4, first 2 shown]
	s_wait_loadcnt 0x3
	v_lshrrev_b32_e32 v163, 16, v37
	v_lshrrev_b32_e32 v162, 16, v38
	v_mul_f16_e64 v175, v66, v167
	v_mul_f16_e64 v176, v81, v166
	v_lshrrev_b32_e32 v164, 16, v36
	v_lshrrev_b32_e32 v161, 16, v39
	v_mul_f16_e64 v173, v65, v168
	v_mul_f16_e64 v181, v69, v167
	;; [unrolled: 1-line block ×8, first 2 shown]
	v_fma_f16 v189, v69, v41, -v175
	v_fma_f16 v190, v74, v42, -v176
	v_mul_f16_e64 v174, v60, v168
	v_mul_f16_e64 v177, v82, v165
	v_mul_f16_e64 v178, v112, v164
	v_mul_f16_e64 v179, v77, v164
	v_mul_f16_e64 v187, v172, v161
	v_mul_f16_e64 v188, v76, v161
	v_fma_f16 v173, v60, v40, -v173
	v_fmac_f16_e64 v181, v66, v41
	v_fmac_f16_e64 v182, v81, v42
	;; [unrolled: 1-line block ×3, first 2 shown]
	v_fma_f16 v82, v70, v37, -v180
	v_fmac_f16_e64 v184, v170, v37
	v_fma_f16 v79, v79, v38, -v185
	v_fmac_f16_e64 v186, v171, v38
	v_add_f16_e64 v60, v189, v190
	v_fmac_f16_e64 v174, v65, v40
	v_fma_f16 v81, v75, v43, -v177
	v_fma_f16 v77, v77, v36, -v178
	v_fmac_f16_e64 v179, v112, v36
	v_fma_f16 v76, v76, v39, -v187
	v_fmac_f16_e64 v188, v172, v39
	v_add_f16_e64 v69, v181, v182
	v_add_f16_e32 v75, v82, v79
	v_fma_f16 v196, -0.5, v60, v67
	v_add_f16_e64 v60, v184, v186
	v_sub_f16_e64 v185, v174, v183
	v_sub_f16_e64 v65, v173, v189
	;; [unrolled: 1-line block ×4, first 2 shown]
	v_fma_f16 v197, -0.5, v69, v72
	v_sub_f16_e64 v193, v179, v188
	v_sub_f16_e64 v194, v77, v76
	v_fma_f16 v198, -0.5, v75, v68
	v_fma_f16 v199, -0.5, v60, v169
	v_sub_f16_e64 v187, v181, v182
	v_sub_f16_e64 v192, v189, v190
	;; [unrolled: 1-line block ×4, first 2 shown]
	v_fma_f16 v170, 0x3b9c, v185, v196
	v_fma_f16 v171, 0xbb9c, v191, v197
	v_add_f16_e64 v195, v65, v66
	v_fma_f16 v60, 0x3b9c, v193, v198
	v_sub_f16_e64 v200, v184, v186
	v_sub_f16_e32 v65, v77, v82
	v_sub_f16_e32 v66, v76, v79
	v_fma_f16 v75, 0xbb9c, v194, v199
	v_sub_f16_e64 v201, v82, v79
	v_sub_f16_e64 v69, v179, v184
	;; [unrolled: 1-line block ×3, first 2 shown]
	v_fmac_f16_e64 v170, 0x38b4, v187
	v_fmac_f16_e64 v171, 0xb8b4, v192
	v_add_f16_e64 v202, v70, v74
	v_fmac_f16_e64 v60, 0x38b4, v200
	v_add_f16_e64 v203, v65, v66
	v_fmac_f16_e64 v75, 0xb8b4, v201
	v_add_f16_e64 v204, v69, v112
	v_fmac_f16_e64 v170, 0x34f2, v195
	v_fmac_f16_e64 v171, 0x34f2, v202
	;; [unrolled: 1-line block ×3, first 2 shown]
	ds_load_2addr_b32 v[65:66], v83 offset0:130 offset1:195
	ds_load_2addr_b32 v[69:70], v64 offset0:12 offset1:77
	v_fmac_f16_e64 v75, 0x34f2, v204
	v_sub_f16_e64 v175, v190, v81
	v_pack_b32_f16 v170, v170, v171
	v_add_f16_e64 v176, v174, v183
	v_sub_f16_e64 v177, v181, v174
	v_pack_b32_f16 v171, v60, v75
	ds_load_2addr_b32 v[63:64], v63 offset0:150 offset1:215
	ds_load_2addr_b32 v[74:75], v62 offset0:8 offset1:73
	v_sub_f16_e64 v62, v189, v173
	v_add_f16_e64 v205, v72, v174
	v_add_f16_e64 v174, v173, v81
	v_sub_f16_e64 v178, v182, v183
	v_fmac_f16_e64 v72, -0.5, v176
	v_add_f16_e64 v62, v62, v175
	v_add_f16_e64 v175, v77, v76
	v_fma_f16 v207, -0.5, v174, v67
	v_add_f16_e64 v174, v179, v188
	v_add_f16_e64 v206, v177, v178
	v_sub_f16_e64 v176, v82, v77
	v_sub_f16_e64 v177, v79, v76
	v_add_f16_e32 v77, v68, v77
	v_fmac_f16_e64 v68, -0.5, v175
	v_add_f16_e64 v208, v169, v179
	v_fmac_f16_e64 v169, -0.5, v174
	v_add_f16_e64 v175, v176, v177
	v_fma_f16 v176, 0xbb9c, v187, v207
	v_sub_f16_e64 v174, v184, v179
	v_fma_f16 v177, 0x3b9c, v192, v72
	v_sub_f16_e64 v178, v186, v188
	v_fma_f16 v179, 0xbb9c, v200, v68
	v_fma_f16 v180, 0x3b9c, v201, v169
	v_fmac_f16_e64 v176, 0x38b4, v185
	v_fmac_f16_e64 v177, 0xb8b4, v191
	v_add_f16_e64 v174, v174, v178
	v_fmac_f16_e64 v179, 0x38b4, v193
	v_fmac_f16_e64 v180, 0xb8b4, v194
	v_lshl_add_u32 v112, v252, 2, v87
	v_fmac_f16_e64 v68, 0x3b9c, v200
	v_fmac_f16_e64 v169, 0xbb9c, v201
	;; [unrolled: 1-line block ×6, first 2 shown]
	v_add_nc_u32_e32 v172, 0x400, v112
	v_fmac_f16_e64 v68, 0xb8b4, v193
	v_fmac_f16_e64 v169, 0x38b4, v194
	v_pack_b32_f16 v177, v176, v177
	v_pack_b32_f16 v178, v179, v180
	v_add_nc_u32_e32 v179, 0x800, v112
	ds_load_2addr_b32 v[60:61], v61 offset0:146 offset1:211
	ds_load_b32 v209, v83 offset:6240
	v_fmac_f16_e64 v68, 0x34f2, v175
	v_fmac_f16_e64 v169, 0x34f2, v174
	ds_store_2addr_b32 v172, v170, v171 offset0:69 offset1:134
	ds_store_2addr_b32 v179, v177, v178 offset0:138 offset1:203
	s_wait_dscnt 0x6
	v_lshrrev_b32_e32 v171, 16, v69
	s_wait_loadcnt 0x2
	v_lshrrev_b32_e32 v178, 16, v53
	v_lshrrev_b32_e32 v175, 16, v78
	v_lshrrev_b32_e32 v176, 16, v52
	v_pack_b32_f16 v210, v68, v169
	v_lshrrev_b32_e32 v170, 16, v80
	v_lshrrev_b32_e32 v174, 16, v54
	;; [unrolled: 1-line block ×3, first 2 shown]
	s_wait_loadcnt 0x1
	v_lshrrev_b32_e32 v169, 16, v49
	v_mul_f16_e64 v177, v171, v178
	v_add_f16_e64 v67, v67, v173
	v_mul_f16_e64 v68, v175, v176
	v_mul_f16_e64 v173, v170, v174
	;; [unrolled: 1-line block ×3, first 2 shown]
	v_fma_f16 v212, v69, v53, -v177
	v_lshrrev_b32_e32 v177, 16, v55
	v_mul_f16_e64 v69, v69, v178
	v_mul_f16_e64 v214, v70, v169
	v_fma_f16 v68, v78, v52, -v68
	v_mul_f16_e64 v78, v78, v176
	v_fma_f16 v211, v80, v54, -v173
	;; [unrolled: 2-line block ×3, first 2 shown]
	s_wait_dscnt 0x5
	v_lshrrev_b32_e32 v70, 16, v63
	v_mul_f16_e64 v215, v63, v177
	v_fmac_f16_e64 v69, v171, v53
	v_fmac_f16_e64 v214, v172, v49
	v_lshrrev_b32_e32 v171, 16, v64
	v_lshrrev_b32_e32 v172, 16, v51
	;; [unrolled: 1-line block ×3, first 2 shown]
	v_fmac_f16_e64 v78, v175, v52
	v_fmac_f16_e64 v80, v170, v54
	;; [unrolled: 1-line block ×3, first 2 shown]
	v_mul_f16_e64 v70, v70, v177
	s_wait_dscnt 0x4
	v_lshrrev_b32_e32 v170, 16, v74
	v_mul_f16_e64 v175, v171, v172
	v_mul_f16_e64 v217, v74, v179
	s_wait_dscnt 0x3
	v_lshrrev_b32_e32 v220, 16, v60
	v_fma_f16 v63, v63, v55, -v70
	v_mul_f16_e64 v70, v170, v179
	v_fma_f16 v218, v64, v51, -v175
	v_fmac_f16_e64 v217, v170, v48
	v_lshrrev_b32_e32 v175, 16, v50
	v_lshrrev_b32_e32 v221, 16, v61
	s_wait_loadcnt 0x0
	v_lshrrev_b32_e32 v170, 16, v46
	v_fma_f16 v74, v74, v48, -v70
	v_lshrrev_b32_e32 v70, 16, v73
	v_lshrrev_b32_e32 v173, 16, v45
	v_mul_f16_e64 v223, v60, v175
	v_mul_f16_e64 v224, v220, v175
	;; [unrolled: 1-line block ×3, first 2 shown]
	v_fmac_f16_e64 v207, 0x3b9c, v187
	v_mul_f16_e64 v222, v70, v173
	v_fmac_f16_e64 v223, v220, v50
	v_fma_f16 v60, v60, v50, -v224
	v_fma_f16 v220, v61, v46, -v225
	v_mul_f16_e64 v224, v61, v170
	v_add_f16_e64 v61, v67, v189
	v_fma_f16 v222, v73, v45, -v222
	v_mul_f16_e64 v73, v73, v173
	v_lshrrev_b32_e32 v132, 16, v47
	v_fmac_f16_e64 v207, 0xb8b4, v185
	v_add_f16_e64 v61, v61, v190
	s_wait_dscnt 0x2
	v_lshrrev_b32_e32 v67, 16, v209
	v_fmac_f16_e32 v73, v70, v45
	v_add_f16_e64 v70, v205, v181
	v_mul_f16_e64 v205, v209, v132
	v_add_f16_e32 v81, v61, v81
	v_fmac_f16_e64 v207, 0x34f2, v62
	v_add_f16_e32 v61, v77, v82
	v_add_f16_e64 v62, v208, v184
	v_mul_f16_e64 v181, v67, v132
	v_add_f16_e64 v70, v70, v182
	v_fmac_f16_e64 v205, v67, v47
	v_add_f16_e32 v61, v61, v79
	v_add_f16_e64 v67, v62, v186
	v_add_f16_e64 v62, v212, v211
	;; [unrolled: 1-line block ×3, first 2 shown]
	v_sub_f16_e64 v70, v78, v215
	v_add_f16_e32 v76, v61, v76
	v_add_f16_e64 v77, v67, v188
	v_fma_f16 v62, -0.5, v62, v65
	v_sub_f16_e64 v61, v68, v212
	v_sub_f16_e64 v67, v63, v211
	v_add_f16_e32 v79, v68, v63
	v_fmac_f16_e64 v196, 0xbb9c, v185
	v_fmac_f16_e64 v198, 0xbb9c, v193
	v_fmamk_f16 v82, v70, 0x3b9c, v62
	v_sub_f16_e64 v183, v69, v80
	v_add_f16_e32 v67, v61, v67
	v_fma_f16 v61, -0.5, v79, v65
	v_fmac_f16_e32 v62, 0xbb9c, v70
	v_sub_f16_e64 v79, v212, v68
	v_sub_f16_e64 v184, v211, v63
	v_add_f16_e64 v185, v65, v68
	v_fmac_f16_e64 v198, 0xb8b4, v200
	v_fmac_f16_e64 v82, 0x38b4, v183
	v_fma_f16 v200, 0xbb9c, v183, v61
	v_fmac_f16_e64 v61, 0x3b9c, v183
	v_fmac_f16_e64 v62, 0xb8b4, v183
	v_add_f16_e64 v79, v79, v184
	v_add_f16_e64 v183, v185, v212
	v_lshrrev_b32_e32 v184, 16, v65
	v_add_f16_e32 v65, v69, v80
	v_fmac_f16_e64 v200, 0x38b4, v70
	v_fmac_f16_e32 v61, 0xb8b4, v70
	v_fmac_f16_e32 v82, 0x34f2, v67
	;; [unrolled: 1-line block ×3, first 2 shown]
	v_add_f16_e64 v67, v183, v211
	v_fma_f16 v185, -0.5, v65, v184
	v_add_f16_e64 v65, v78, v215
	v_fmac_f16_e64 v199, 0x3b9c, v194
	v_fmac_f16_e64 v200, 0x34f2, v79
	v_fmac_f16_e32 v61, 0x34f2, v79
	v_add_f16_e32 v79, v67, v63
	v_sub_f16_e32 v63, v68, v63
	v_sub_f16_e32 v67, v78, v69
	v_sub_f16_e64 v68, v215, v80
	v_add_f16_e64 v70, v184, v78
	v_sub_f16_e64 v183, v212, v211
	v_fmac_f16_e64 v184, -0.5, v65
	v_mul_f16_e64 v64, v64, v172
	v_fmac_f16_e64 v199, 0x38b4, v201
	v_add_f16_e32 v67, v67, v68
	v_fma_f16 v201, 0xbb9c, v63, v185
	v_add_f16_e32 v65, v70, v69
	v_sub_f16_e32 v68, v69, v78
	v_fmac_f16_e64 v185, 0x3b9c, v63
	v_fma_f16 v78, 0x3b9c, v183, v184
	v_fmac_f16_e64 v184, 0xbb9c, v183
	v_fmac_f16_e64 v64, v171, v51
	;; [unrolled: 1-line block ×3, first 2 shown]
	v_sub_f16_e64 v69, v80, v215
	v_add_f16_e32 v65, v65, v80
	v_fmac_f16_e64 v185, 0x38b4, v183
	v_fmac_f16_e32 v78, 0xb8b4, v63
	v_fmac_f16_e64 v184, 0x38b4, v63
	v_add_f16_e64 v63, v213, v60
	v_add_f16_e32 v68, v68, v69
	v_add_f16_e64 v80, v65, v215
	v_fmac_f16_e64 v201, 0x34f2, v67
	v_fmac_f16_e64 v185, 0x34f2, v67
	v_sub_f16_e64 v65, v74, v213
	v_sub_f16_e64 v67, v218, v60
	v_fma_f16 v63, -0.5, v63, v66
	v_sub_f16_e64 v69, v217, v64
	v_fmac_f16_e32 v78, 0x34f2, v68
	v_fmac_f16_e64 v184, 0x34f2, v68
	v_add_f16_e32 v67, v65, v67
	v_add_f16_e64 v65, v74, v218
	v_fmamk_f16 v70, v69, 0x3b9c, v63
	v_sub_f16_e64 v68, v214, v223
	v_fmac_f16_e32 v63, 0xbb9c, v69
	v_add_f16_e64 v183, v66, v74
	v_lshrrev_b32_e32 v186, 16, v66
	v_fmac_f16_e32 v66, -0.5, v65
	v_fmac_f16_e32 v70, 0x38b4, v68
	v_fmac_f16_e32 v63, 0xb8b4, v68
	v_fmac_f16_e64 v196, 0xb8b4, v187
	v_add_f16_e64 v183, v183, v213
	v_sub_f16_e64 v187, v213, v74
	v_sub_f16_e64 v188, v60, v218
	v_fmamk_f16 v65, v68, 0xbb9c, v66
	v_fmac_f16_e32 v66, 0x3b9c, v68
	v_fmac_f16_e32 v70, 0x34f2, v67
	;; [unrolled: 1-line block ×3, first 2 shown]
	v_add_f16_e64 v67, v214, v223
	v_lshrrev_b32_e32 v216, 16, v75
	v_lshrrev_b32_e32 v58, 16, v44
	v_add_f16_e64 v183, v183, v60
	v_add_f16_e64 v68, v187, v188
	v_fmac_f16_e32 v65, 0x38b4, v69
	v_fmac_f16_e32 v66, 0xb8b4, v69
	v_fma_f16 v187, -0.5, v67, v186
	v_add_f16_e64 v67, v217, v64
	v_add_f16_e64 v189, v186, v217
	v_mul_f16_e64 v180, v216, v58
	v_add_f16_e64 v69, v183, v218
	v_fmac_f16_e32 v65, 0x34f2, v68
	v_fmac_f16_e32 v66, 0x34f2, v68
	v_sub_f16_e64 v68, v74, v218
	v_sub_f16_e64 v74, v217, v214
	;; [unrolled: 1-line block ×4, first 2 shown]
	v_fmac_f16_e64 v186, -0.5, v67
	v_add_f16_e64 v67, v189, v214
	v_fma_f16 v219, v75, v44, -v180
	v_fma_f16 v181, v209, v47, -v181
	v_add_f16_e64 v74, v74, v183
	v_sub_f16_e64 v183, v214, v217
	v_sub_f16_e64 v190, v223, v64
	v_fma_f16 v189, 0x3b9c, v60, v186
	v_fmac_f16_e64 v186, 0xbb9c, v60
	v_add_f16_e64 v67, v67, v223
	v_mul_f16_e32 v75, v75, v58
	v_fma_f16 v188, 0xbb9c, v68, v187
	v_fmac_f16_e64 v187, 0x3b9c, v68
	v_add_f16_e64 v183, v183, v190
	v_fmac_f16_e64 v189, 0xb8b4, v68
	v_fmac_f16_e64 v186, 0x38b4, v68
	v_add_f16_e64 v190, v67, v64
	v_sub_f16_e64 v64, v219, v222
	v_sub_f16_e64 v67, v181, v220
	v_fmac_f16_e64 v75, v216, v44
	v_fmac_f16_e64 v224, v221, v46
	;; [unrolled: 1-line block ×6, first 2 shown]
	v_add_f16_e64 v60, v222, v220
	v_fmac_f16_e64 v189, 0x34f2, v183
	v_fmac_f16_e64 v186, 0x34f2, v183
	v_add_f16_e64 v183, v64, v67
	v_add_f16_e64 v64, v219, v181
	v_fmac_f16_e64 v197, 0x38b4, v192
	v_fmac_f16_e64 v72, 0x38b4, v191
	;; [unrolled: 1-line block ×4, first 2 shown]
	v_fma_f16 v60, -0.5, v60, v59
	v_sub_f16_e64 v74, v75, v205
	v_sub_f16_e64 v192, v73, v224
	v_add_f16_e64 v68, v59, v219
	v_lshrrev_b32_e32 v191, 16, v59
	v_fmac_f16_e32 v59, -0.5, v64
	v_fmamk_f16 v67, v74, 0x3b9c, v60
	v_fmac_f16_e32 v60, 0xbb9c, v74
	v_add_f16_e64 v64, v68, v222
	v_sub_f16_e64 v193, v222, v219
	v_sub_f16_e64 v194, v220, v181
	v_fma_f16 v68, 0xbb9c, v192, v59
	v_fmac_f16_e64 v59, 0x3b9c, v192
	v_fmac_f16_e64 v67, 0x38b4, v192
	;; [unrolled: 1-line block ×3, first 2 shown]
	v_add_f16_e64 v192, v193, v194
	v_fmac_f16_e32 v68, 0x38b4, v74
	v_fmac_f16_e32 v59, 0xb8b4, v74
	v_add_f16_e64 v74, v73, v224
	v_add_f16_e64 v64, v64, v220
	;; [unrolled: 1-line block ×3, first 2 shown]
	v_fmac_f16_e64 v68, 0x34f2, v192
	v_fmac_f16_e64 v59, 0x34f2, v192
	v_fma_f16 v192, -0.5, v74, v191
	v_add_f16_e64 v74, v75, v205
	v_fmac_f16_e64 v196, 0x34f2, v195
	v_sub_f16_e64 v195, v222, v220
	v_add_f16_e64 v64, v64, v181
	v_fmac_f16_e64 v67, 0x34f2, v183
	v_fmac_f16_e64 v191, -0.5, v74
	v_fmac_f16_e64 v60, 0x34f2, v183
	v_sub_f16_e64 v181, v219, v181
	v_sub_f16_e64 v183, v75, v73
	;; [unrolled: 1-line block ×3, first 2 shown]
	v_add_f16_e64 v74, v194, v73
	v_sub_f16_e32 v73, v73, v75
	v_sub_f16_e64 v75, v224, v205
	v_fma_f16 v194, 0x3b9c, v195, v191
	v_fmac_f16_e64 v191, 0xbb9c, v195
	v_fmac_f16_e64 v72, 0x34f2, v206
	;; [unrolled: 1-line block ×5, first 2 shown]
	v_add_f16_e64 v183, v183, v193
	v_fma_f16 v193, 0xbb9c, v181, v192
	v_fmac_f16_e64 v192, 0x3b9c, v181
	v_add_f16_e64 v74, v74, v224
	v_add_f16_e32 v73, v73, v75
	v_fmac_f16_e64 v194, 0xb8b4, v181
	v_fmac_f16_e64 v191, 0x38b4, v181
	v_pack_b32_f16 v72, v207, v72
	v_pack_b32_f16 v75, v76, v77
	v_add_nc_u32_e32 v77, 0xe00, v112
	v_fmac_f16_e64 v193, 0xb8b4, v195
	v_fmac_f16_e64 v192, 0x38b4, v195
	v_add_f16_e64 v195, v74, v205
	v_pack_b32_f16 v74, v196, v197
	v_pack_b32_f16 v76, v198, v199
	v_add_nc_u32_e32 v181, 0x1400, v112
	v_pack_b32_f16 v79, v79, v80
	v_fmac_f16_e64 v194, 0x34f2, v73
	v_fmac_f16_e64 v191, 0x34f2, v73
	v_pack_b32_f16 v73, v81, v182
	ds_store_2addr_b32 v77, v72, v210 offset0:79 offset1:144
	ds_store_2addr_b32 v181, v74, v76 offset0:20 offset1:85
	;; [unrolled: 1-line block ×3, first 2 shown]
	v_pack_b32_f16 v72, v82, v201
	v_pack_b32_f16 v74, v200, v78
	;; [unrolled: 1-line block ×4, first 2 shown]
	ds_store_b32 v83, v73
	ds_store_b32 v83, v72 offset:1820
	ds_store_b32 v83, v74 offset:3120
	;; [unrolled: 1-line block ×4, first 2 shown]
	v_pack_b32_f16 v72, v69, v190
	v_fmac_f16_e64 v193, 0x34f2, v183
	v_pack_b32_f16 v73, v70, v188
	v_pack_b32_f16 v74, v65, v189
	;; [unrolled: 1-line block ×3, first 2 shown]
	v_fmac_f16_e64 v192, 0x34f2, v183
	v_pack_b32_f16 v76, v63, v187
	ds_store_b32 v112, v72 offset:780
	ds_store_b32 v83, v73 offset:2080
	;; [unrolled: 1-line block ×5, first 2 shown]
	v_pack_b32_f16 v72, v64, v195
	v_pack_b32_f16 v73, v67, v193
	;; [unrolled: 1-line block ×5, first 2 shown]
	ds_store_b32 v112, v72 offset:1040
	ds_store_b32 v83, v73 offset:2340
	ds_store_b32 v83, v74 offset:3640
	ds_store_b32 v83, v75 offset:4940
	ds_store_b32 v83, v76 offset:6240
	global_wb scope:SCOPE_SE
	s_wait_dscnt 0x0
	s_barrier_signal -1
	s_barrier_wait -1
	global_inv scope:SCOPE_SE
	s_clause 0xc
	global_load_b32 v72, v[56:57], off offset:6500
	global_load_b32 v77, v71, s[0:1] offset:500
	global_load_b32 v82, v71, s[0:1] offset:1000
	global_load_b32 v181, v71, s[0:1] offset:1500
	global_load_b32 v182, v71, s[0:1] offset:2000
	global_load_b32 v183, v71, s[0:1] offset:2500
	global_load_b32 v196, v71, s[0:1] offset:3000
	global_load_b32 v197, v71, s[0:1] offset:3500
	global_load_b32 v198, v71, s[0:1] offset:4000
	global_load_b32 v199, v71, s[0:1] offset:4500
	global_load_b32 v200, v71, s[0:1] offset:5000
	global_load_b32 v201, v71, s[0:1] offset:5500
	global_load_b32 v202, v71, s[0:1] offset:6000
	ds_load_2addr_b32 v[75:76], v83 offset1:125
	v_add_nc_u32_e32 v73, 0x200, v83
	ds_load_2addr_b32 v[78:79], v73 offset0:122 offset1:247
	s_wait_dscnt 0x1
	v_lshrrev_b32_e32 v80, 16, v75
	v_lshrrev_b32_e32 v203, 16, v76
	s_wait_loadcnt 0xb
	v_lshrrev_b32_e32 v81, 16, v77
	s_wait_loadcnt 0x7
	v_lshrrev_b32_e32 v208, 16, v183
	s_delay_alu instid0(VALU_DEP_2) | instskip(SKIP_2) | instid1(VALU_DEP_2)
	v_mul_f16_e64 v206, v203, v81
	v_mul_f16_e64 v207, v76, v81
	v_lshrrev_b32_e32 v74, 16, v72
	v_fmac_f16_e64 v207, v203, v77
	s_wait_dscnt 0x0
	v_lshrrev_b32_e32 v203, 16, v78
	s_delay_alu instid0(VALU_DEP_3) | instskip(SKIP_2) | instid1(VALU_DEP_3)
	v_mul_f16_e64 v204, v80, v74
	v_mul_f16_e64 v205, v75, v74
	v_add_nc_u32_e32 v74, 0x600, v83
	v_fma_f16 v75, v75, v72, -v204
	s_delay_alu instid0(VALU_DEP_3)
	v_fmac_f16_e64 v205, v80, v72
	ds_load_2addr_b32 v[80:81], v74 offset0:116 offset1:241
	v_fma_f16 v72, v76, v77, -v206
	v_lshrrev_b32_e32 v76, 16, v82
	v_add_nc_u32_e32 v77, 0xa00, v83
	v_pack_b32_f16 v75, v75, v205
	v_lshrrev_b32_e32 v205, 16, v79
	v_pack_b32_f16 v72, v72, v207
	v_mul_f16_e64 v204, v78, v76
	v_mul_f16_e64 v76, v203, v76
	v_lshrrev_b32_e32 v206, 16, v181
	ds_store_2addr_b32 v83, v75, v72 offset1:125
	v_fmac_f16_e64 v204, v203, v82
	v_fma_f16 v72, v78, v82, -v76
	ds_load_2addr_b32 v[75:76], v77 offset0:110 offset1:235
	v_mul_f16_e64 v78, v205, v206
	v_lshrrev_b32_e32 v82, 16, v182
	v_mul_f16_e64 v203, v79, v206
	v_pack_b32_f16 v72, v72, v204
	s_wait_dscnt 0x2
	v_lshrrev_b32_e32 v206, 16, v80
	v_lshrrev_b32_e32 v207, 16, v81
	v_mul_f16_e64 v209, v80, v82
	v_fma_f16 v210, v79, v181, -v78
	v_fmac_f16_e64 v203, v205, v181
	v_mul_f16_e64 v79, v206, v82
	v_mul_f16_e64 v82, v207, v208
	v_add_nc_u32_e32 v78, 0xe00, v83
	v_mul_f16_e64 v181, v81, v208
	v_fmac_f16_e64 v209, v206, v182
	v_fma_f16 v182, v80, v182, -v79
	v_fma_f16 v81, v81, v183, -v82
	ds_load_2addr_b32 v[79:80], v78 offset0:104 offset1:229
	v_fmac_f16_e64 v181, v207, v183
	s_wait_loadcnt 0x6
	v_lshrrev_b32_e32 v82, 16, v196
	s_wait_dscnt 0x1
	v_lshrrev_b32_e32 v183, 16, v75
	v_pack_b32_f16 v203, v210, v203
	v_pack_b32_f16 v204, v182, v209
	;; [unrolled: 1-line block ×3, first 2 shown]
	v_add_nc_u32_e32 v81, 0x1200, v83
	v_mul_f16_e64 v206, v75, v82
	v_mul_f16_e64 v82, v183, v82
	v_lshrrev_b32_e32 v207, 16, v76
	s_wait_loadcnt 0x5
	v_lshrrev_b32_e32 v208, 16, v197
	ds_load_2addr_b32 v[181:182], v81 offset0:98 offset1:223
	v_fmac_f16_e64 v206, v183, v196
	ds_load_b32 v183, v83 offset:6000
	ds_store_2addr_b32 v73, v72, v203 offset0:122 offset1:247
	v_fma_f16 v72, v75, v196, -v82
	v_mul_f16_e64 v75, v207, v208
	s_wait_loadcnt 0x4
	v_lshrrev_b32_e32 v196, 16, v198
	v_mul_f16_e64 v82, v76, v208
	s_wait_dscnt 0x3
	v_lshrrev_b32_e32 v203, 16, v79
	v_lshrrev_b32_e32 v208, 16, v80
	s_wait_loadcnt 0x3
	v_lshrrev_b32_e32 v209, 16, v199
	v_fma_f16 v75, v76, v197, -v75
	v_mul_f16_e64 v76, v79, v196
	v_fmac_f16_e64 v82, v207, v197
	v_mul_f16_e64 v196, v203, v196
	v_mul_f16_e64 v197, v208, v209
	;; [unrolled: 1-line block ×3, first 2 shown]
	v_fmac_f16_e64 v76, v203, v198
	s_wait_loadcnt 0x2
	v_lshrrev_b32_e32 v203, 16, v200
	v_fma_f16 v79, v79, v198, -v196
	v_fma_f16 v80, v80, v199, -v197
	v_fmac_f16_e64 v207, v208, v199
	s_wait_dscnt 0x2
	v_lshrrev_b32_e32 v196, 16, v181
	v_mul_f16_e64 v197, v181, v203
	v_lshrrev_b32_e32 v198, 16, v182
	s_wait_loadcnt 0x1
	v_lshrrev_b32_e32 v199, 16, v201
	s_wait_dscnt 0x1
	v_lshrrev_b32_e32 v208, 16, v183
	s_wait_loadcnt 0x0
	v_lshrrev_b32_e32 v209, 16, v202
	v_mul_f16_e64 v203, v196, v203
	v_fmac_f16_e64 v197, v196, v200
	v_mul_f16_e64 v196, v198, v199
	v_mul_f16_e64 v199, v182, v199
	;; [unrolled: 1-line block ×4, first 2 shown]
	v_fma_f16 v181, v181, v200, -v203
	v_fma_f16 v182, v182, v201, -v196
	v_fmac_f16_e64 v199, v198, v201
	v_fma_f16 v183, v183, v202, -v210
	v_fmac_f16_e64 v209, v208, v202
	v_pack_b32_f16 v72, v72, v206
	v_pack_b32_f16 v75, v75, v82
	;; [unrolled: 1-line block ×7, first 2 shown]
	ds_store_2addr_b32 v74, v204, v205 offset0:116 offset1:241
	ds_store_2addr_b32 v77, v72, v75 offset0:110 offset1:235
	;; [unrolled: 1-line block ×4, first 2 shown]
	ds_store_b32 v83, v181 offset:6000
	s_and_saveexec_b32 s2, vcc_lo
	s_cbranch_execz .LBB0_9
; %bb.8:
	s_wait_alu 0xfffe
	v_add_co_u32 v71, s0, s0, v71
	s_wait_alu 0xf1ff
	v_add_co_ci_u32_e64 v72, null, s1, 0, s0
	v_add_nc_u32_e32 v210, 0x1600, v83
	s_clause 0xc
	global_load_b32 v75, v[71:72], off offset:260
	global_load_b32 v82, v[71:72], off offset:760
	;; [unrolled: 1-line block ×13, first 2 shown]
	ds_load_b32 v71, v112 offset:260
	s_wait_dscnt 0x0
	v_lshrrev_b32_e32 v72, 16, v71
	s_wait_loadcnt 0xc
	v_lshrrev_b32_e32 v76, 16, v75
	s_wait_loadcnt 0xb
	;; [unrolled: 2-line block ×5, first 2 shown]
	v_lshrrev_b32_e32 v214, 16, v201
	v_mul_f16_e32 v79, v72, v76
	v_mul_f16_e32 v76, v71, v76
	s_wait_loadcnt 0x7
	v_lshrrev_b32_e32 v215, 16, v202
	s_wait_loadcnt 0x6
	v_lshrrev_b32_e32 v216, 16, v203
	;; [unrolled: 2-line block ×3, first 2 shown]
	v_fma_f16 v71, v71, v75, -v79
	v_fmac_f16_e32 v76, v72, v75
	s_wait_loadcnt 0x4
	v_lshrrev_b32_e32 v218, 16, v205
	s_wait_loadcnt 0x3
	v_lshrrev_b32_e32 v219, 16, v206
	;; [unrolled: 2-line block ×4, first 2 shown]
	v_pack_b32_f16 v71, v71, v76
	s_wait_loadcnt 0x0
	v_lshrrev_b32_e32 v222, 16, v209
	ds_store_b32 v112, v71 offset:260
	ds_load_2addr_b32 v[71:72], v73 offset0:62 offset1:187
	ds_load_2addr_b32 v[75:76], v74 offset0:56 offset1:181
	;; [unrolled: 1-line block ×6, first 2 shown]
	s_wait_dscnt 0x5
	v_lshrrev_b32_e32 v223, 16, v71
	v_lshrrev_b32_e32 v225, 16, v72
	s_wait_dscnt 0x4
	v_lshrrev_b32_e32 v227, 16, v75
	v_lshrrev_b32_e32 v229, 16, v76
	;; [unrolled: 3-line block ×5, first 2 shown]
	v_mul_f16_e64 v224, v71, v211
	v_mul_f16_e64 v226, v72, v212
	s_wait_dscnt 0x0
	v_lshrrev_b32_e32 v243, 16, v198
	v_lshrrev_b32_e32 v245, 16, v199
	v_mul_f16_e64 v211, v223, v211
	v_mul_f16_e64 v212, v225, v212
	;; [unrolled: 1-line block ×20, first 2 shown]
	v_fmac_f16_e64 v224, v223, v82
	v_fmac_f16_e64 v226, v225, v183
	v_mul_f16_e64 v221, v243, v221
	v_mul_f16_e64 v222, v245, v222
	v_fma_f16 v71, v71, v82, -v211
	v_fma_f16 v72, v72, v183, -v212
	v_fmac_f16_e64 v228, v227, v200
	v_fmac_f16_e64 v230, v229, v201
	v_fma_f16 v75, v75, v200, -v213
	v_fma_f16 v76, v76, v201, -v214
	v_fmac_f16_e64 v232, v231, v202
	v_fmac_f16_e64 v234, v233, v203
	;; [unrolled: 4-line block ×5, first 2 shown]
	v_fma_f16 v196, v198, v208, -v221
	v_fma_f16 v197, v199, v209, -v222
	v_pack_b32_f16 v71, v71, v224
	v_pack_b32_f16 v72, v72, v226
	v_pack_b32_f16 v75, v75, v228
	v_pack_b32_f16 v76, v76, v230
	v_pack_b32_f16 v79, v79, v232
	v_pack_b32_f16 v80, v80, v234
	v_pack_b32_f16 v82, v82, v236
	v_pack_b32_f16 v181, v181, v238
	v_pack_b32_f16 v182, v182, v240
	v_pack_b32_f16 v183, v183, v242
	v_pack_b32_f16 v196, v196, v244
	v_pack_b32_f16 v197, v197, v246
	ds_store_2addr_b32 v73, v71, v72 offset0:62 offset1:187
	ds_store_2addr_b32 v74, v75, v76 offset0:56 offset1:181
	ds_store_2addr_b32 v77, v79, v80 offset0:50 offset1:175
	ds_store_2addr_b32 v78, v82, v181 offset0:44 offset1:169
	ds_store_2addr_b32 v81, v182, v183 offset0:38 offset1:163
	ds_store_2addr_b32 v210, v196, v197 offset0:32 offset1:157
.LBB0_9:
	s_wait_alu 0xfffe
	s_or_b32 exec_lo, exec_lo, s2
	global_wb scope:SCOPE_SE
	s_wait_dscnt 0x0
	s_barrier_signal -1
	s_barrier_wait -1
	global_inv scope:SCOPE_SE
	ds_load_2addr_b32 v[71:72], v83 offset1:125
	ds_load_2addr_b32 v[79:80], v73 offset0:122 offset1:247
	ds_load_2addr_b32 v[75:76], v74 offset0:116 offset1:241
	;; [unrolled: 1-line block ×5, first 2 shown]
	ds_load_b32 v197, v83 offset:6000
	s_and_saveexec_b32 s0, vcc_lo
	s_cbranch_execz .LBB0_11
; %bb.10:
	v_add_nc_u32_e32 v59, 0x400, v112
	v_add_nc_u32_e32 v60, 0x800, v112
	;; [unrolled: 1-line block ×3, first 2 shown]
	ds_load_2addr_b32 v[61:62], v112 offset0:65 offset1:190
	ds_load_2addr_b32 v[69:70], v59 offset0:59 offset1:184
	v_add_nc_u32_e32 v59, 0x1000, v112
	ds_load_2addr_b32 v[65:66], v60 offset0:53 offset1:178
	v_add_nc_u32_e32 v60, 0x1400, v112
	ds_load_2addr_b32 v[63:64], v63 offset0:47 offset1:172
	ds_load_2addr_b32 v[67:68], v59 offset0:41 offset1:166
	;; [unrolled: 1-line block ×3, first 2 shown]
	ds_load_b32 v113, v112 offset:6260
	s_wait_dscnt 0x6
	v_lshrrev_b32_e32 v184, 16, v61
	v_lshrrev_b32_e32 v185, 16, v62
	s_wait_dscnt 0x5
	v_lshrrev_b32_e32 v190, 16, v69
	v_lshrrev_b32_e32 v188, 16, v70
	;; [unrolled: 3-line block ×6, first 2 shown]
	s_wait_dscnt 0x0
	v_lshrrev_b32_e32 v114, 16, v113
.LBB0_11:
	s_wait_alu 0xfffe
	s_or_b32 exec_lo, exec_lo, s0
	s_wait_dscnt 0x6
	v_pk_add_f16 v196, v71, v72
	s_wait_dscnt 0x0
	v_pk_add_f16 v198, v72, v197 neg_lo:[0,1] neg_hi:[0,1]
	v_pk_add_f16 v199, v197, v72
	v_lshrrev_b32_e32 v201, 16, v71
	v_add_nc_u32_e32 v181, 0x208, v83
	v_pk_add_f16 v196, v196, v79
	v_lshrrev_b32_e32 v202, 16, v198
	v_lshrrev_b32_e32 v204, 16, v199
	v_pk_mul_f16 v200, 0xb770, v198 op_sel_hi:[0,1]
	v_add_nc_u32_e32 v103, 0x30c, v83
	v_pk_add_f16 v196, v196, v80
	v_mul_f16_e64 v208, 0xbb7b, v202
	v_mul_f16_e64 v205, 0x388b, v204
	;; [unrolled: 1-line block ×4, first 2 shown]
	v_pk_add_f16 v203, v196, v75
	v_fma_f16 v215, 0xb5ac, v199, v208
	v_fma_f16 v208, v199, 0xb5ac, -v208
	v_pk_fma_f16 v72, 0x3b15, v199, v200 op_sel:[0,0,1] op_sel_hi:[0,1,0]
	v_pk_fma_f16 v196, 0x3b15, v199, v200 op_sel:[0,0,1] op_sel_hi:[0,1,0] neg_lo:[0,0,1] neg_hi:[0,0,1]
	v_pk_add_f16 v203, v203, v76
	v_mul_f16_e64 v200, 0xba95, v202
	v_mul_f16_e64 v206, 0xbbf1, v202
	v_fma_f16 v212, 0x3a95, v198, v205
	v_bfi_b32 v210, 0xffff, v72, v196
	v_pk_add_f16 v203, v203, v73
	v_fma_f16 v211, 0x388b, v199, v200
	v_fma_f16 v200, v199, 0x388b, -v200
	v_fmac_f16_e64 v205, 0xba95, v198
	v_fma_f16 v214, 0x3bf1, v198, v207
	v_pk_add_f16 v203, v203, v74
	v_fmac_f16_e64 v207, 0xbbf1, v198
	v_fma_f16 v216, 0x3b7b, v198, v209
	v_pk_add_f16 v210, v71, v210
	v_fmac_f16_e64 v209, 0xbb7b, v198
	v_pk_add_f16 v203, v203, v77
	v_fma_f16 v213, 0x2fb7, v199, v206
	v_fma_f16 v206, v199, 0x2fb7, -v206
	v_add_f16_e64 v211, v71, v211
	v_add_f16_e64 v212, v201, v212
	v_pk_add_f16 v203, v203, v78
	v_add_f16_e64 v200, v71, v200
	v_add_f16_e64 v205, v201, v205
	;; [unrolled: 1-line block ×4, first 2 shown]
	v_pk_add_f16 v203, v203, v81
	v_add_f16_e64 v216, v201, v216
	v_add_f16_e64 v209, v201, v209
	;; [unrolled: 1-line block ×3, first 2 shown]
	v_mul_f16_e64 v202, 0xb94e, v202
	v_pk_add_f16 v203, v203, v82
	v_add_f16_e64 v213, v71, v213
	v_add_f16_e64 v215, v71, v215
	v_bfi_b32 v72, 0xffff, v196, v72
	v_fma_f16 v217, 0xb9fd, v199, v202
	v_pk_add_f16 v197, v203, v197
	v_mul_f16_e64 v203, 0xb9fd, v204
	v_add_f16_e64 v204, v71, v208
	v_pk_add_f16 v208, v79, v82 neg_lo:[0,1] neg_hi:[0,1]
	v_pk_add_f16 v79, v82, v79
	v_add_f16_e64 v217, v71, v217
	v_fma_f16 v218, 0x394e, v198, v203
	v_fmac_f16_e64 v203, 0xb94e, v198
	v_pk_mul_f16 v82, 0xba95, v208 op_sel_hi:[0,1]
	v_lshrrev_b32_e32 v219, 16, v208
	v_lshrrev_b32_e32 v222, 16, v79
	v_add_f16_e64 v218, v201, v218
	v_add_f16_e64 v201, v201, v203
	v_pk_fma_f16 v220, 0x388b, v79, v82 op_sel:[0,0,1] op_sel_hi:[0,1,0]
	v_pk_fma_f16 v82, 0x388b, v79, v82 op_sel:[0,0,1] op_sel_hi:[0,1,0] neg_lo:[0,0,1] neg_hi:[0,0,1]
	v_mul_f16_e64 v221, 0xbb7b, v219
	v_mul_f16_e64 v225, 0xb5ac, v222
	;; [unrolled: 1-line block ×3, first 2 shown]
	v_fma_f16 v202, v199, 0xb9fd, -v202
	v_bfi_b32 v223, 0xffff, v220, v82
	v_fma_f16 v224, 0xb5ac, v79, v221
	v_fma_f16 v221, v79, 0xb5ac, -v221
	v_pk_mul_f16 v199, 0xbbc4, v199 op_sel_hi:[0,1]
	v_add_f16_e64 v202, v71, v202
	v_pk_add_f16 v203, v223, v210
	v_mul_f16_e64 v210, 0xb3a8, v219
	v_fma_f16 v223, 0x3b7b, v208, v225
	v_add_f16_e64 v211, v224, v211
	v_add_f16_e64 v200, v221, v200
	v_fma_f16 v221, 0x33a8, v208, v226
	v_fma_f16 v224, 0xbbc4, v79, v210
	v_add_f16_e64 v212, v223, v212
	v_mul_f16_e64 v223, 0x394e, v219
	v_fma_f16 v210, v79, 0xbbc4, -v210
	v_add_f16_e64 v214, v221, v214
	v_mul_f16_e64 v219, 0x3bf1, v219
	v_fmac_f16_e64 v225, 0xbb7b, v208
	v_fma_f16 v221, 0xb9fd, v79, v223
	v_add_f16_e64 v206, v210, v206
	v_fma_f16 v210, v79, 0xb9fd, -v223
	v_add_f16_e64 v213, v224, v213
	v_mul_f16_e64 v224, 0xb9fd, v222
	v_add_f16_e64 v215, v221, v215
	v_mul_f16_e64 v221, 0x2fb7, v222
	v_add_f16_e64 v204, v210, v204
	v_pk_add_f16 v210, v80, v81 neg_lo:[0,1] neg_hi:[0,1]
	v_fma_f16 v222, 0x2fb7, v79, v219
	v_add_f16_e64 v205, v225, v205
	v_fma_f16 v225, 0xb94e, v208, v224
	v_fmac_f16_e64 v224, 0x394e, v208
	v_pk_add_f16 v80, v81, v80
	v_add_f16_e64 v217, v222, v217
	v_lshrrev_b32_e32 v222, 16, v210
	v_add_f16_e64 v216, v225, v216
	v_add_f16_e64 v209, v224, v209
	v_fma_f16 v219, v79, 0x2fb7, -v219
	v_lshrrev_b32_e32 v225, 16, v80
	v_mul_f16_e64 v224, 0xb3a8, v222
	v_fma_f16 v223, 0xbbf1, v208, v221
	v_pk_mul_f16 v81, 0xbbf1, v210 op_sel_hi:[0,1]
	v_add_f16_e64 v202, v219, v202
	v_mul_f16_e64 v227, 0xbbc4, v225
	v_fma_f16 v219, 0xbbc4, v80, v224
	v_fmac_f16_e64 v226, 0xb3a8, v208
	v_add_f16_e64 v218, v223, v218
	v_pk_fma_f16 v223, 0x2fb7, v80, v81 op_sel:[0,0,1] op_sel_hi:[0,1,0]
	v_pk_fma_f16 v81, 0x2fb7, v80, v81 op_sel:[0,0,1] op_sel_hi:[0,1,0] neg_lo:[0,0,1] neg_hi:[0,0,1]
	v_fmac_f16_e64 v221, 0x3bf1, v208
	v_add_f16_e64 v211, v219, v211
	v_fma_f16 v219, 0x33a8, v210, v227
	v_fma_f16 v224, v80, 0xbbc4, -v224
	v_mul_f16_e64 v228, 0xb5ac, v225
	v_add_f16_e64 v207, v226, v207
	v_bfi_b32 v226, 0xffff, v223, v81
	v_add_f16_e64 v201, v221, v201
	v_mul_f16_e64 v221, 0x3b7b, v222
	v_add_f16_e64 v212, v219, v212
	v_add_f16_e64 v200, v224, v200
	v_fma_f16 v219, 0xbb7b, v210, v228
	v_mul_f16_e64 v224, 0x3770, v222
	v_pk_add_f16 v203, v226, v203
	v_fma_f16 v226, 0xb5ac, v80, v221
	v_fma_f16 v221, v80, 0xb5ac, -v221
	v_add_f16_e64 v214, v219, v214
	v_fma_f16 v219, 0x3b15, v80, v224
	v_fmac_f16_e64 v227, 0xb3a8, v210
	v_add_f16_e64 v213, v226, v213
	v_add_f16_e64 v206, v221, v206
	v_fma_f16 v221, v80, 0x3b15, -v224
	v_add_f16_e64 v215, v219, v215
	v_mul_f16_e64 v219, 0xba95, v222
	v_mul_f16_e64 v226, 0x3b15, v225
	v_add_f16_e64 v205, v227, v205
	v_add_f16_e64 v204, v221, v204
	v_pk_add_f16 v221, v75, v78 neg_lo:[0,1] neg_hi:[0,1]
	v_fma_f16 v224, 0x388b, v80, v219
	v_fma_f16 v227, 0xb770, v210, v226
	v_fmac_f16_e64 v226, 0x3770, v210
	v_pk_add_f16 v75, v78, v75
	v_mul_f16_e64 v222, 0x388b, v225
	v_add_f16_e64 v217, v224, v217
	v_lshrrev_b32_e32 v224, 16, v221
	v_add_f16_e64 v216, v227, v216
	v_add_f16_e64 v209, v226, v209
	v_fma_f16 v219, v80, 0x388b, -v219
	v_lshrrev_b32_e32 v227, 16, v75
	v_mul_f16_e64 v226, 0x394e, v224
	v_fma_f16 v225, 0x3a95, v210, v222
	v_pk_mul_f16 v78, 0xbb7b, v221 op_sel_hi:[0,1]
	v_add_f16_e64 v202, v219, v202
	v_mul_f16_e64 v229, 0xb9fd, v227
	v_fma_f16 v219, 0xb9fd, v75, v226
	v_fmac_f16_e64 v228, 0x3b7b, v210
	v_add_f16_e64 v218, v225, v218
	v_pk_fma_f16 v225, 0xb5ac, v75, v78 op_sel:[0,0,1] op_sel_hi:[0,1,0]
	v_pk_fma_f16 v78, 0xb5ac, v75, v78 op_sel:[0,0,1] op_sel_hi:[0,1,0] neg_lo:[0,0,1] neg_hi:[0,0,1]
	v_fmac_f16_e64 v222, 0xba95, v210
	v_add_f16_e64 v211, v219, v211
	v_fma_f16 v219, 0xb94e, v221, v229
	v_fma_f16 v226, v75, 0xb9fd, -v226
	v_mul_f16_e64 v230, 0x3b15, v227
	v_add_f16_e64 v207, v228, v207
	v_bfi_b32 v228, 0xffff, v225, v78
	v_add_f16_e64 v201, v222, v201
	v_mul_f16_e64 v222, 0x3770, v224
	v_add_f16_e64 v212, v219, v212
	v_add_f16_e64 v200, v226, v200
	v_fma_f16 v219, 0xb770, v221, v230
	v_mul_f16_e64 v226, 0xbbf1, v224
	v_pk_add_f16 v203, v228, v203
	v_fma_f16 v228, 0x3b15, v75, v222
	v_fma_f16 v222, v75, 0x3b15, -v222
	v_add_f16_e64 v214, v219, v214
	v_fma_f16 v219, 0x2fb7, v75, v226
	v_fmac_f16_e64 v229, 0x394e, v221
	v_add_f16_e64 v213, v228, v213
	v_add_f16_e64 v206, v222, v206
	v_fma_f16 v222, v75, 0x2fb7, -v226
	v_add_f16_e64 v215, v219, v215
	v_mul_f16_e64 v219, 0x33a8, v224
	v_mul_f16_e64 v228, 0x2fb7, v227
	v_add_f16_e64 v205, v229, v205
	v_add_f16_e64 v204, v222, v204
	v_pk_add_f16 v222, v76, v77 neg_lo:[0,1] neg_hi:[0,1]
	v_fma_f16 v226, 0xbbc4, v75, v219
	v_fma_f16 v229, 0x3bf1, v221, v228
	v_mul_f16_e64 v224, 0xbbc4, v227
	v_fmac_f16_e64 v228, 0xbbf1, v221
	v_pk_add_f16 v76, v77, v76
	v_add_f16_e64 v217, v226, v217
	v_lshrrev_b32_e32 v226, 16, v222
	v_add_f16_e64 v216, v229, v216
	v_fma_f16 v227, 0xb3a8, v221, v224
	v_pk_mul_f16 v77, 0xb94e, v222 op_sel_hi:[0,1]
	v_add_f16_e64 v209, v228, v209
	v_fma_f16 v219, v75, 0xbbc4, -v219
	v_mul_f16_e64 v228, 0x3bf1, v226
	v_lshrrev_b32_e32 v229, 16, v76
	v_fmac_f16_e64 v230, 0x3770, v221
	v_add_f16_e64 v218, v227, v218
	v_pk_fma_f16 v227, 0xb9fd, v76, v77 op_sel:[0,0,1] op_sel_hi:[0,1,0]
	v_pk_fma_f16 v77, 0xb9fd, v76, v77 op_sel:[0,0,1] op_sel_hi:[0,1,0] neg_lo:[0,0,1] neg_hi:[0,0,1]
	v_fmac_f16_e64 v224, 0x33a8, v221
	v_add_f16_e64 v202, v219, v202
	v_fma_f16 v219, 0x2fb7, v76, v228
	v_mul_f16_e64 v231, 0x2fb7, v229
	v_add_f16_e64 v207, v230, v207
	v_bfi_b32 v230, 0xffff, v227, v77
	v_add_f16_e64 v201, v224, v201
	v_mul_f16_e64 v224, 0xba95, v226
	v_add_f16_e64 v211, v219, v211
	v_fma_f16 v219, 0xbbf1, v222, v231
	v_fma_f16 v228, v76, 0x2fb7, -v228
	v_mul_f16_e64 v232, 0x388b, v229
	v_pk_add_f16 v203, v230, v203
	v_fma_f16 v230, 0x388b, v76, v224
	v_add_f16_e64 v212, v219, v212
	v_add_f16_e64 v200, v228, v200
	v_fma_f16 v219, 0x3a95, v222, v232
	v_mul_f16_e64 v228, 0x33a8, v226
	v_fma_f16 v224, v76, 0x388b, -v224
	v_fmac_f16_e64 v231, 0x3bf1, v222
	v_add_f16_e64 v213, v230, v213
	v_add_f16_e64 v214, v219, v214
	v_fma_f16 v219, 0xbbc4, v76, v228
	v_add_f16_e64 v206, v224, v206
	v_fma_f16 v224, v76, 0xbbc4, -v228
	v_mul_f16_e64 v230, 0xbbc4, v229
	v_add_f16_e64 v205, v231, v205
	v_add_f16_e64 v215, v219, v215
	v_mul_f16_e64 v219, 0x3770, v226
	v_mul_f16_e64 v226, 0x3b15, v229
	v_add_f16_e64 v204, v224, v204
	v_pk_add_f16 v224, v73, v74 neg_lo:[0,1] neg_hi:[0,1]
	v_fma_f16 v231, 0xb3a8, v222, v230
	v_fmac_f16_e64 v230, 0x33a8, v222
	v_fma_f16 v228, 0x3b15, v76, v219
	v_fma_f16 v229, 0xb770, v222, v226
	v_pk_add_f16 v73, v74, v73
	v_pk_mul_f16 v74, 0xb3a8, v224 op_sel_hi:[0,1]
	v_fmac_f16_e64 v232, 0xba95, v222
	v_add_f16_e64 v209, v230, v209
	v_add_f16_e64 v217, v228, v217
	;; [unrolled: 1-line block ×3, first 2 shown]
	v_lshrrev_b32_e32 v228, 16, v224
	v_pk_fma_f16 v229, 0xbbc4, v73, v74 op_sel:[0,0,1] op_sel_hi:[0,1,0]
	v_pk_fma_f16 v74, 0xbbc4, v73, v74 op_sel:[0,0,1] op_sel_hi:[0,1,0] neg_lo:[0,0,1] neg_hi:[0,0,1]
	v_fma_f16 v219, v76, 0x3b15, -v219
	v_lshrrev_b32_e32 v230, 16, v73
	v_add_f16_e64 v207, v232, v207
	v_add_f16_e64 v216, v231, v216
	v_mul_f16_e64 v231, 0x3770, v228
	v_fmac_f16_e64 v226, 0x3770, v222
	v_bfi_b32 v232, 0xffff, v229, v74
	v_add_f16_e64 v202, v219, v202
	v_mul_f16_e64 v219, 0x3b15, v230
	v_fma_f16 v233, 0x3b15, v73, v231
	v_add_f16_e64 v201, v226, v201
	v_pk_add_f16 v203, v232, v203
	v_mul_f16_e64 v226, 0xb94e, v228
	v_fma_f16 v232, 0xb770, v224, v219
	v_fmac_f16_e64 v219, 0x3770, v224
	v_add_f16_e64 v211, v233, v211
	v_fma_f16 v231, v73, 0x3b15, -v231
	v_fma_f16 v233, 0xb9fd, v73, v226
	v_fma_f16 v226, v73, 0xb9fd, -v226
	v_add_f16_e64 v205, v219, v205
	v_mul_f16_e64 v219, 0x3a95, v228
	v_mul_f16_e64 v228, 0xbb7b, v228
	v_add_f16_e64 v213, v233, v213
	v_mul_f16_e64 v233, 0x388b, v230
	v_add_f16_e64 v212, v232, v212
	v_fma_f16 v234, 0x388b, v73, v219
	v_fma_f16 v219, v73, 0x388b, -v219
	v_mul_f16_e64 v232, 0xb9fd, v230
	v_add_f16_e64 v206, v226, v206
	v_fma_f16 v226, 0xba95, v224, v233
	v_add_f16_e64 v200, v231, v200
	v_add_f16_e64 v204, v219, v204
	v_fma_f16 v219, 0xb5ac, v73, v228
	v_fma_f16 v231, 0x394e, v224, v232
	v_add_f16_e64 v216, v226, v216
	v_mul_f16_e64 v226, 0xb5ac, v230
	v_fma_f16 v228, v73, 0xb5ac, -v228
	v_add_f16_e64 v217, v219, v217
	v_pk_fma_f16 v219, 0xb3a8, v198, v199 op_sel:[0,0,1] op_sel_hi:[0,1,0]
	v_pk_mul_f16 v79, 0x3b15, v79 op_sel_hi:[0,1]
	v_add_f16_e64 v214, v231, v214
	v_fma_f16 v230, 0x3b7b, v224, v226
	v_fmac_f16_e64 v226, 0xbb7b, v224
	v_add_f16_e64 v202, v228, v202
	v_alignbit_b32 v228, s0, v219, 16
	v_pk_fma_f16 v198, 0xb3a8, v198, v199 op_sel:[0,0,1] op_sel_hi:[0,1,0] neg_lo:[0,1,0] neg_hi:[0,1,0]
	v_pk_fma_f16 v199, 0x3770, v208, v79 op_sel:[0,0,1] op_sel_hi:[0,1,0]
	v_pk_mul_f16 v80, 0xb9fd, v80 op_sel_hi:[0,1]
	v_add_f16_e64 v201, v226, v201
	v_pack_b32_f16 v213, v213, v214
	v_pk_add_f16 v214, v71, v228
	v_alignbit_b32 v226, s0, v71, 16
	v_pk_add_f16 v198, v71, v198 op_sel:[1,0] op_sel_hi:[0,1]
	v_alignbit_b32 v228, s0, v199, 16
	v_pk_fma_f16 v79, 0x3770, v208, v79 op_sel:[0,0,1] op_sel_hi:[0,1,0] neg_lo:[0,1,0] neg_hi:[0,1,0]
	v_pk_fma_f16 v208, 0xb94e, v210, v80 op_sel:[0,0,1] op_sel_hi:[0,1,0]
	v_pk_mul_f16 v75, 0x388b, v75 op_sel_hi:[0,1]
	v_pk_add_f16 v219, v226, v219
	v_pk_add_f16 v214, v228, v214
	;; [unrolled: 1-line block ×3, first 2 shown]
	v_alignbit_b32 v198, s0, v208, 16
	v_pk_fma_f16 v80, 0xb94e, v210, v80 op_sel:[0,0,1] op_sel_hi:[0,1,0] neg_lo:[0,1,0] neg_hi:[0,1,0]
	v_pk_fma_f16 v210, 0x3a95, v221, v75 op_sel:[0,0,1] op_sel_hi:[0,1,0]
	v_pk_mul_f16 v76, 0xb5ac, v76 op_sel_hi:[0,1]
	v_pk_add_f16 v199, v199, v219
	v_pk_add_f16 v198, v198, v214
	;; [unrolled: 1-line block ×3, first 2 shown]
	v_alignbit_b32 v80, s0, v210, 16
	v_pk_fma_f16 v75, 0x3a95, v221, v75 op_sel:[0,0,1] op_sel_hi:[0,1,0] neg_lo:[0,1,0] neg_hi:[0,1,0]
	v_pk_fma_f16 v214, 0xbb7b, v222, v76 op_sel:[0,0,1] op_sel_hi:[0,1,0]
	v_pk_add_f16 v71, v71, v72
	v_bfi_b32 v72, 0xffff, v82, v220
	v_pk_add_f16 v199, v208, v199
	v_pk_add_f16 v80, v80, v198
	;; [unrolled: 1-line block ×3, first 2 shown]
	v_alignbit_b32 v79, s0, v214, 16
	v_pk_mul_f16 v73, 0x2fb7, v73 op_sel_hi:[0,1]
	v_pk_add_f16 v71, v72, v71
	v_bfi_b32 v72, 0xffff, v81, v223
	v_pk_add_f16 v82, v210, v199
	v_pk_fma_f16 v76, 0xbb7b, v222, v76 op_sel:[0,0,1] op_sel_hi:[0,1,0] neg_lo:[0,1,0] neg_hi:[0,1,0]
	v_pk_add_f16 v79, v79, v80
	v_pk_fma_f16 v80, 0x3bf1, v224, v73 op_sel:[0,0,1] op_sel_hi:[0,1,0]
	v_pk_add_f16 v71, v72, v71
	v_bfi_b32 v72, 0xffff, v78, v225
	v_pk_add_f16 v75, v76, v75
	v_pk_add_f16 v76, v214, v82
	v_alignbit_b32 v81, s0, v80, 16
	v_pk_fma_f16 v73, 0x3bf1, v224, v73 op_sel:[0,0,1] op_sel_hi:[0,1,0] neg_lo:[0,1,0] neg_hi:[0,1,0]
	v_fmac_f16_e64 v233, 0x3a95, v224
	v_fmac_f16_e64 v232, 0xb94e, v224
	v_pk_add_f16 v71, v72, v71
	v_bfi_b32 v72, 0xffff, v77, v227
	v_add_f16_e64 v215, v234, v215
	v_add_f16_e64 v218, v230, v218
	v_pk_add_f16 v79, v81, v79
	v_pk_add_f16 v73, v73, v75
	;; [unrolled: 1-line block ×3, first 2 shown]
	v_add_f16_e64 v209, v233, v209
	v_add_nc_u32_e32 v180, 0x410, v83
	v_add_f16_e64 v207, v232, v207
	v_pk_add_f16 v71, v72, v71
	v_bfi_b32 v72, 0xffff, v74, v229
	v_pack_b32_f16 v78, v211, v212
	v_pack_b32_f16 v76, v217, v218
	;; [unrolled: 1-line block ×3, first 2 shown]
	v_alignbit_b32 v75, v75, v73, 16
	v_pack_b32_f16 v73, v79, v73
	v_pack_b32_f16 v74, v204, v209
	;; [unrolled: 1-line block ×3, first 2 shown]
	global_wb scope:SCOPE_SE
	s_barrier_signal -1
	s_barrier_wait -1
	global_inv scope:SCOPE_SE
	v_pack_b32_f16 v80, v200, v205
	v_pack_b32_f16 v81, v206, v207
	v_pk_add_f16 v71, v72, v71
	ds_store_2addr_b32 v160, v197, v203 offset1:1
	ds_store_2addr_b32 v160, v78, v213 offset0:2 offset1:3
	ds_store_2addr_b32 v160, v77, v76 offset0:4 offset1:5
	;; [unrolled: 1-line block ×5, first 2 shown]
	ds_store_b32 v160, v71 offset:48
	s_and_saveexec_b32 s0, vcc_lo
	s_cbranch_execz .LBB0_13
; %bb.12:
	v_add_f16_e32 v71, v62, v61
	v_sub_f16_e32 v74, v69, v60
	v_sub_f16_e32 v72, v65, v68
	v_sub_f16_e64 v76, v185, v114
	v_sub_f16_e32 v73, v70, v59
	v_add_f16_e32 v71, v69, v71
	v_add_f16_e32 v77, v113, v62
	v_sub_f16_e32 v62, v62, v113
	v_mul_f16_e32 v79, 0xb3a8, v76
	v_mul_f16_e32 v80, 0xb94e, v76
	v_add_f16_e32 v71, v70, v71
	v_add_f16_e32 v70, v59, v70
	v_mul_f16_e32 v81, 0xbbf1, v76
	v_mul_f16_e32 v82, 0xba95, v76
	v_fma_f16 v160, 0xb9fd, v77, v80
	v_add_f16_e32 v71, v65, v71
	v_fma_f16 v80, v77, 0xb9fd, -v80
	v_fma_f16 v196, 0x2fb7, v77, v81
	v_fma_f16 v81, v77, 0x2fb7, -v81
	v_add_f16_e64 v198, v192, v190
	v_add_f16_e32 v75, v66, v71
	v_sub_f16_e32 v71, v66, v67
	v_sub_f16_e64 v214, v63, v64
	v_add_f16_e64 v160, v61, v160
	v_mul_f16_e64 v199, 0x3b15, v198
	v_add_f16_e32 v78, v63, v75
	v_add_f16_e32 v75, v60, v69
	;; [unrolled: 1-line block ×4, first 2 shown]
	v_fma_f16 v200, 0xb770, v74, v199
	v_add_f16_e32 v66, v64, v78
	v_add_f16_e64 v78, v114, v185
	v_add_f16_e64 v196, v61, v196
	v_add_f16_e32 v80, v61, v80
	v_add_f16_e32 v81, v61, v81
	;; [unrolled: 1-line block ×3, first 2 shown]
	v_mul_f16_e32 v67, 0xbb7b, v76
	v_mul_f16_e32 v76, 0xb770, v76
	v_add_f16_e32 v63, v64, v63
	v_mul_f16_e32 v64, 0xb9fd, v78
	v_add_f16_e32 v66, v68, v66
	v_fmamk_f16 v68, v77, 0xbbc4, v79
	v_fma_f16 v79, v77, 0xbbc4, -v79
	v_fma_f16 v197, 0x3b15, v77, v76
	v_fma_f16 v76, v77, 0x3b15, -v76
	v_add_f16_e32 v59, v59, v66
	v_fmamk_f16 v66, v77, 0xb5ac, v67
	v_fma_f16 v67, v77, 0xb5ac, -v67
	v_add_f16_e32 v68, v61, v68
	v_add_f16_e64 v183, v61, v76
	v_add_f16_e32 v59, v60, v59
	v_fmamk_f16 v60, v77, 0x388b, v82
	v_fma_f16 v82, v77, 0x388b, -v82
	v_mul_f16_e32 v77, 0xbbc4, v78
	v_add_f16_e32 v66, v61, v66
	v_add_f16_e64 v197, v61, v197
	v_add_f16_e32 v60, v61, v60
	v_add_f16_e32 v79, v61, v79
	v_fmamk_f16 v76, v62, 0x33a8, v77
	v_add_f16_e32 v67, v61, v67
	v_add_f16_e32 v82, v61, v82
	v_mul_f16_e64 v218, 0x2fb7, v198
	v_mul_f16_e64 v231, 0xb9fd, v198
	v_add_f16_e64 v76, v184, v76
	v_mul_f16_e64 v243, 0xbbc4, v198
	v_mov_b32_e32 v182, v130
	v_fma_f16 v219, 0xbbf1, v74, v218
	v_fma_f16 v232, 0xb94e, v74, v231
	v_add_f16_e64 v76, v200, v76
	v_add_f16_e64 v200, v191, v188
	v_fma_f16 v244, 0x33a8, v74, v243
	v_dual_mov_b32 v130, v120 :: v_dual_mov_b32 v121, v158
	v_mov_b32_e32 v120, v251
	s_delay_alu instid0(VALU_DEP_4) | instskip(SKIP_3) | instid1(VALU_DEP_4)
	v_mul_f16_e64 v201, 0xb9fd, v200
	v_mov_b32_e32 v158, v156
	v_mov_b32_e32 v156, v140
	v_dual_mov_b32 v140, v139 :: v_dual_mov_b32 v139, v138
	v_fma_f16 v202, 0x394e, v73, v201
	v_mov_b32_e32 v138, v137
	v_add_f16_e32 v59, v113, v59
	v_fmac_f16_e64 v199, 0x3770, v74
	v_fmac_f16_e64 v218, 0x3bf1, v74
	v_add_f16_e64 v76, v202, v76
	v_add_f16_e64 v202, v194, v189
	v_fmac_f16_e64 v231, 0x394e, v74
	v_fmac_f16_e64 v243, 0xb3a8, v74
	v_fmac_f16_e64 v201, 0xb94e, v73
	v_fmac_f16_e32 v77, 0xb3a8, v62
	v_mul_f16_e64 v203, 0x388b, v202
	v_mov_b32_e32 v171, v161
	v_dual_mov_b32 v161, v144 :: v_dual_mov_b32 v144, v129
	s_delay_alu instid0(VALU_DEP_4) | instskip(NEXT) | instid1(VALU_DEP_4)
	v_add_f16_e64 v77, v184, v77
	v_fma_f16 v204, 0xba95, v72, v203
	v_fmac_f16_e64 v203, 0x3a95, v72
	v_mov_b32_e32 v129, v119
	v_mov_b32_e32 v119, v250
	;; [unrolled: 1-line block ×3, first 2 shown]
	v_add_f16_e64 v76, v204, v76
	v_sub_f16_e64 v204, v190, v192
	v_mov_b32_e32 v157, v155
	v_dual_mov_b32 v155, v154 :: v_dual_mov_b32 v154, v153
	v_mov_b32_e32 v137, v134
	s_delay_alu instid0(VALU_DEP_4) | instskip(SKIP_3) | instid1(VALU_DEP_4)
	v_mul_f16_e64 v205, 0x3770, v204
	v_dual_mov_b32 v153, v252 :: v_dual_mov_b32 v134, v173
	v_mov_b32_e32 v173, v131
	v_mov_b32_e32 v131, v253
	v_fma_f16 v206, 0x3b15, v75, v205
	v_fma_f16 v113, v75, 0x3b15, -v205
	v_add_f16_e64 v77, v199, v77
	s_delay_alu instid0(VALU_DEP_3) | instskip(SKIP_1) | instid1(VALU_DEP_4)
	v_add_f16_e64 v68, v206, v68
	v_sub_f16_e64 v206, v188, v191
	v_add_f16_e32 v79, v113, v79
	s_delay_alu instid0(VALU_DEP_4) | instskip(NEXT) | instid1(VALU_DEP_3)
	v_add_f16_e64 v77, v201, v77
	v_mul_f16_e64 v207, 0xb94e, v206
	s_delay_alu instid0(VALU_DEP_2) | instskip(NEXT) | instid1(VALU_DEP_2)
	v_add_f16_e64 v77, v203, v77
	v_fma_f16 v208, 0xb9fd, v70, v207
	v_fma_f16 v113, v70, 0xb9fd, -v207
	s_delay_alu instid0(VALU_DEP_2) | instskip(SKIP_1) | instid1(VALU_DEP_3)
	v_add_f16_e64 v68, v208, v68
	v_add_f16_e64 v208, v193, v186
	v_add_f16_e32 v79, v113, v79
	s_delay_alu instid0(VALU_DEP_2) | instskip(NEXT) | instid1(VALU_DEP_1)
	v_mul_f16_e64 v209, 0xb5ac, v208
	v_fma_f16 v210, 0x3b7b, v71, v209
	v_fmac_f16_e64 v209, 0xbb7b, v71
	s_delay_alu instid0(VALU_DEP_2) | instskip(SKIP_1) | instid1(VALU_DEP_3)
	v_add_f16_e64 v76, v210, v76
	v_sub_f16_e64 v210, v189, v194
	v_add_f16_e64 v77, v209, v77
	s_delay_alu instid0(VALU_DEP_2) | instskip(NEXT) | instid1(VALU_DEP_1)
	v_mul_f16_e64 v211, 0x3a95, v210
	v_fma_f16 v212, 0x388b, v69, v211
	v_fma_f16 v113, v69, 0x388b, -v211
	s_delay_alu instid0(VALU_DEP_2) | instskip(SKIP_1) | instid1(VALU_DEP_3)
	v_add_f16_e64 v68, v212, v68
	v_add_f16_e64 v212, v195, v187
	v_add_f16_e32 v79, v113, v79
	s_delay_alu instid0(VALU_DEP_2) | instskip(NEXT) | instid1(VALU_DEP_1)
	v_mul_f16_e64 v213, 0x2fb7, v212
	v_fma_f16 v215, 0xbbf1, v214, v213
	v_fmac_f16_e64 v213, 0x3bf1, v214
	s_delay_alu instid0(VALU_DEP_2)
	v_add_f16_e64 v61, v215, v76
	v_sub_f16_e64 v215, v186, v193
	scratch_store_b32 off, v82, off offset:16 ; 4-byte Folded Spill
	v_dual_mov_b32 v82, v179 :: v_dual_mov_b32 v179, v169
	scratch_store_b32 off, v61, off offset:20 ; 4-byte Folded Spill
	v_mul_f16_e64 v216, 0xbb7b, v215
	v_dual_mov_b32 v169, v152 :: v_dual_mov_b32 v152, v142
	v_dual_mov_b32 v142, v127 :: v_dual_mov_b32 v127, v117
	s_delay_alu instid0(VALU_DEP_3) | instskip(SKIP_2) | instid1(VALU_DEP_3)
	v_fma_f16 v217, 0xb5ac, v65, v216
	v_dual_mov_b32 v117, v248 :: v_dual_mov_b32 v76, v58
	v_dual_mov_b32 v58, v135 :: v_dual_mov_b32 v135, v124
	v_add_f16_e64 v68, v217, v68
	v_fma_f16 v217, 0x394e, v62, v64
	v_fma_f16 v113, v65, 0xb5ac, -v216
	v_fmac_f16_e32 v64, 0xb94e, v62
	v_add_f16_e64 v77, v213, v77
	s_delay_alu instid0(VALU_DEP_4) | instskip(NEXT) | instid1(VALU_DEP_4)
	v_add_f16_e64 v217, v184, v217
	v_add_f16_e32 v79, v113, v79
	s_delay_alu instid0(VALU_DEP_4) | instskip(NEXT) | instid1(VALU_DEP_3)
	v_add_f16_e64 v64, v184, v64
	v_add_f16_e64 v217, v219, v217
	v_mul_f16_e64 v219, 0x388b, v200
	s_delay_alu instid0(VALU_DEP_3) | instskip(NEXT) | instid1(VALU_DEP_2)
	v_add_f16_e64 v64, v218, v64
	v_fma_f16 v220, 0x3a95, v73, v219
	v_fmac_f16_e64 v219, 0xba95, v73
	s_delay_alu instid0(VALU_DEP_2) | instskip(SKIP_1) | instid1(VALU_DEP_3)
	v_add_f16_e64 v217, v220, v217
	v_mul_f16_e64 v220, 0xbbc4, v202
	v_add_f16_e64 v64, v219, v64
	s_delay_alu instid0(VALU_DEP_2) | instskip(SKIP_1) | instid1(VALU_DEP_2)
	v_fma_f16 v221, 0xb3a8, v72, v220
	v_fmac_f16_e64 v220, 0x33a8, v72
	v_add_f16_e64 v217, v221, v217
	v_sub_f16_e64 v221, v187, v195
	s_delay_alu instid0(VALU_DEP_3) | instskip(NEXT) | instid1(VALU_DEP_2)
	v_add_f16_e64 v64, v220, v64
	v_mul_f16_e64 v222, 0x3bf1, v221
	s_delay_alu instid0(VALU_DEP_1) | instskip(NEXT) | instid1(VALU_DEP_1)
	v_fma_f16 v223, 0x2fb7, v63, v222
	v_add_f16_e64 v61, v223, v68
	v_mul_f16_e64 v223, 0x3bf1, v204
	v_mov_b32_e32 v68, v178
	v_mov_b32_e32 v178, v168
	;; [unrolled: 1-line block ×3, first 2 shown]
	scratch_store_b32 off, v61, off offset:24 ; 4-byte Folded Spill
	v_fma_f16 v224, 0x2fb7, v75, v223
	v_mov_b32_e32 v151, v141
	v_dual_mov_b32 v141, v126 :: v_dual_mov_b32 v126, v116
	v_mov_b32_e32 v116, v110
	s_delay_alu instid0(VALU_DEP_4) | instskip(SKIP_4) | instid1(VALU_DEP_4)
	v_add_f16_e64 v160, v224, v160
	v_mul_f16_e64 v224, 0x3b15, v208
	v_dual_mov_b32 v110, v109 :: v_dual_mov_b32 v109, v247
	v_mov_b32_e32 v124, v255
	v_mul_f16_e64 v255, 0xb5ac, v198
	v_fma_f16 v225, 0xb770, v71, v224
	v_mov_b32_e32 v122, v112
	v_mov_b32_e32 v112, v87
	v_fma_f16 v113, v75, 0x2fb7, -v223
	v_fma_f16 v115, 0x3b7b, v74, v255
	v_add_f16_e64 v217, v225, v217
	v_mul_f16_e64 v225, 0xba95, v206
	v_fmac_f16_e64 v255, 0xbb7b, v74
	v_add_f16_e32 v80, v113, v80
	v_fma_f16 v113, v63, 0x2fb7, -v222
	v_fmac_f16_e64 v224, 0x3770, v71
	v_fma_f16 v226, 0x388b, v70, v225
	s_delay_alu instid0(VALU_DEP_3) | instskip(SKIP_1) | instid1(VALU_DEP_3)
	v_add_f16_e32 v79, v113, v79
	v_fma_f16 v113, v70, 0x388b, -v225
	v_add_f16_e64 v160, v226, v160
	v_mul_f16_e64 v226, 0x33a8, v210
	v_add_f16_e64 v64, v224, v64
	s_delay_alu instid0(VALU_DEP_4) | instskip(NEXT) | instid1(VALU_DEP_3)
	v_add_f16_e32 v80, v113, v80
	v_fma_f16 v227, 0xbbc4, v69, v226
	s_delay_alu instid0(VALU_DEP_1) | instskip(SKIP_1) | instid1(VALU_DEP_1)
	v_add_f16_e64 v160, v227, v160
	v_mul_f16_e64 v227, 0xb5ac, v212
	v_fma_f16 v228, 0x3b7b, v214, v227
	v_fmac_f16_e64 v227, 0xbb7b, v214
	s_delay_alu instid0(VALU_DEP_2) | instskip(SKIP_1) | instid1(VALU_DEP_3)
	v_add_f16_e64 v61, v228, v217
	v_mul_f16_e64 v228, 0x3770, v215
	v_add_f16_e64 v64, v227, v64
	scratch_store_b32 off, v61, off offset:28 ; 4-byte Folded Spill
	v_fma_f16 v229, 0x3b15, v65, v228
	s_delay_alu instid0(VALU_DEP_1) | instskip(SKIP_1) | instid1(VALU_DEP_1)
	v_add_f16_e64 v160, v229, v160
	v_mul_f16_e64 v229, 0xb5ac, v78
	v_fma_f16 v230, 0x3b7b, v62, v229
	v_fmac_f16_e64 v229, 0xbb7b, v62
	s_delay_alu instid0(VALU_DEP_2) | instskip(NEXT) | instid1(VALU_DEP_2)
	v_add_f16_e64 v230, v184, v230
	v_add_f16_e64 v113, v184, v229
	s_delay_alu instid0(VALU_DEP_2) | instskip(SKIP_1) | instid1(VALU_DEP_3)
	v_add_f16_e64 v230, v232, v230
	v_mul_f16_e64 v232, 0x3b15, v200
	v_add_f16_e64 v113, v231, v113
	s_delay_alu instid0(VALU_DEP_2) | instskip(SKIP_1) | instid1(VALU_DEP_2)
	v_fma_f16 v233, 0xb770, v73, v232
	v_fmac_f16_e64 v232, 0x3770, v73
	v_add_f16_e64 v230, v233, v230
	v_mul_f16_e64 v233, 0x2fb7, v202
	s_delay_alu instid0(VALU_DEP_3) | instskip(NEXT) | instid1(VALU_DEP_2)
	v_add_f16_e64 v113, v232, v113
	v_fma_f16 v234, 0x3bf1, v72, v233
	v_fmac_f16_e64 v233, 0xbbf1, v72
	s_delay_alu instid0(VALU_DEP_2) | instskip(SKIP_1) | instid1(VALU_DEP_3)
	v_add_f16_e64 v230, v234, v230
	v_mul_f16_e64 v234, 0xbb7b, v221
	v_add_f16_e64 v113, v233, v113
	s_delay_alu instid0(VALU_DEP_2) | instskip(NEXT) | instid1(VALU_DEP_1)
	v_fma_f16 v235, 0xb5ac, v63, v234
	v_add_f16_e64 v61, v235, v160
	v_mul_f16_e64 v235, 0x394e, v204
	v_mov_b32_e32 v160, v136
	v_dual_mov_b32 v136, v125 :: v_dual_mov_b32 v125, v86
	scratch_store_b32 off, v61, off offset:32 ; 4-byte Folded Spill
	v_fma_f16 v236, 0xb9fd, v75, v235
	v_dual_mov_b32 v61, v148 :: v_dual_mov_b32 v148, v133
	v_mov_b32_e32 v133, v123
	v_mov_b32_e32 v123, v254
	s_delay_alu instid0(VALU_DEP_4) | instskip(SKIP_1) | instid1(VALU_DEP_1)
	v_add_f16_e64 v66, v236, v66
	v_mul_f16_e64 v236, 0xbbc4, v208
	v_fma_f16 v237, 0xb3a8, v71, v236
	v_fmac_f16_e64 v236, 0x33a8, v71
	s_delay_alu instid0(VALU_DEP_2) | instskip(SKIP_1) | instid1(VALU_DEP_3)
	v_add_f16_e64 v230, v237, v230
	v_mul_f16_e64 v237, 0x3770, v206
	v_add_f16_e64 v113, v236, v113
	s_delay_alu instid0(VALU_DEP_2) | instskip(NEXT) | instid1(VALU_DEP_1)
	v_fma_f16 v238, 0x3b15, v70, v237
	v_add_f16_e64 v66, v238, v66
	v_mul_f16_e64 v238, 0xbbf1, v210
	s_delay_alu instid0(VALU_DEP_1) | instskip(NEXT) | instid1(VALU_DEP_1)
	v_fma_f16 v239, 0x2fb7, v69, v238
	v_add_f16_e64 v66, v239, v66
	v_mul_f16_e64 v239, 0x388b, v212
	s_delay_alu instid0(VALU_DEP_1) | instskip(SKIP_1) | instid1(VALU_DEP_2)
	v_fma_f16 v240, 0xba95, v214, v239
	v_fmac_f16_e64 v239, 0x3a95, v214
	v_add_f16_e64 v230, v240, v230
	v_mul_f16_e64 v240, 0x33a8, v215
	s_delay_alu instid0(VALU_DEP_3) | instskip(NEXT) | instid1(VALU_DEP_2)
	v_add_f16_e64 v113, v239, v113
	v_fma_f16 v241, 0xbbc4, v65, v240
	s_delay_alu instid0(VALU_DEP_1) | instskip(SKIP_1) | instid1(VALU_DEP_1)
	v_add_f16_e64 v66, v241, v66
	v_mul_f16_e64 v241, 0x2fb7, v78
	v_fma_f16 v242, 0x3bf1, v62, v241
	v_fmac_f16_e64 v241, 0xbbf1, v62
	s_delay_alu instid0(VALU_DEP_2) | instskip(NEXT) | instid1(VALU_DEP_1)
	v_add_f16_e64 v242, v184, v242
	v_add_f16_e64 v242, v244, v242
	v_mul_f16_e64 v244, 0xb5ac, v200
	s_delay_alu instid0(VALU_DEP_1) | instskip(SKIP_1) | instid1(VALU_DEP_2)
	v_fma_f16 v245, 0xbb7b, v73, v244
	v_fmac_f16_e64 v244, 0x3b7b, v73
	v_add_f16_e64 v242, v245, v242
	v_mul_f16_e64 v245, 0x3b15, v202
	s_delay_alu instid0(VALU_DEP_1) | instskip(SKIP_1) | instid1(VALU_DEP_2)
	v_fma_f16 v246, 0xb770, v72, v245
	v_fmac_f16_e64 v245, 0x3770, v72
	v_add_f16_e64 v242, v246, v242
	v_mul_f16_e64 v246, 0x3a95, v221
	s_delay_alu instid0(VALU_DEP_1) | instskip(NEXT) | instid1(VALU_DEP_1)
	v_fma_f16 v247, 0x388b, v63, v246
	v_add_f16_e64 v217, v247, v66
	v_mul_f16_e64 v247, 0xb3a8, v204
	v_mov_b32_e32 v66, v128
	v_mov_b32_e32 v128, v118
	;; [unrolled: 1-line block ×3, first 2 shown]
	s_delay_alu instid0(VALU_DEP_4) | instskip(NEXT) | instid1(VALU_DEP_1)
	v_fma_f16 v248, 0xbbc4, v75, v247
	v_add_f16_e64 v196, v248, v196
	v_mul_f16_e64 v248, 0x388b, v208
	s_delay_alu instid0(VALU_DEP_1) | instskip(SKIP_1) | instid1(VALU_DEP_2)
	v_fma_f16 v249, 0x3a95, v71, v248
	v_fmac_f16_e64 v248, 0xba95, v71
	v_add_f16_e64 v242, v249, v242
	v_mul_f16_e64 v249, 0x3b7b, v206
	s_delay_alu instid0(VALU_DEP_1) | instskip(NEXT) | instid1(VALU_DEP_1)
	v_fma_f16 v250, 0xb5ac, v70, v249
	v_add_f16_e64 v196, v250, v196
	v_mul_f16_e64 v250, 0x3770, v210
	s_delay_alu instid0(VALU_DEP_1) | instskip(NEXT) | instid1(VALU_DEP_1)
	v_fma_f16 v251, 0x3b15, v69, v250
	v_add_f16_e64 v196, v251, v196
	v_mul_f16_e64 v251, 0xb9fd, v212
	s_delay_alu instid0(VALU_DEP_1) | instskip(SKIP_1) | instid1(VALU_DEP_2)
	v_fma_f16 v252, 0x394e, v214, v251
	v_fmac_f16_e64 v251, 0xb94e, v214
	v_add_f16_e64 v242, v252, v242
	v_mul_f16_e64 v252, 0xba95, v215
	s_delay_alu instid0(VALU_DEP_1) | instskip(NEXT) | instid1(VALU_DEP_1)
	v_fma_f16 v253, 0x388b, v65, v252
	v_add_f16_e64 v196, v253, v196
	v_mul_f16_e64 v253, 0x388b, v78
	v_mul_f16_e32 v78, 0x3b15, v78
	s_delay_alu instid0(VALU_DEP_2) | instskip(SKIP_1) | instid1(VALU_DEP_2)
	v_fma_f16 v254, 0x3a95, v62, v253
	v_fmac_f16_e64 v253, 0xba95, v62
	v_add_f16_e64 v254, v184, v254
	s_delay_alu instid0(VALU_DEP_1) | instskip(SKIP_1) | instid1(VALU_DEP_1)
	v_add_f16_e64 v115, v115, v254
	v_mul_f16_e64 v254, 0xbbc4, v200
	v_fma_f16 v86, 0x33a8, v73, v254
	v_fmac_f16_e64 v254, 0xb3a8, v73
	s_delay_alu instid0(VALU_DEP_2) | instskip(SKIP_1) | instid1(VALU_DEP_1)
	v_add_f16_e32 v86, v86, v115
	v_mul_f16_e64 v115, 0xb9fd, v202
	v_fmamk_f16 v87, v72, 0xb94e, v115
	v_fmac_f16_e32 v115, 0x394e, v72
	s_delay_alu instid0(VALU_DEP_2) | instskip(SKIP_1) | instid1(VALU_DEP_1)
	v_add_f16_e32 v86, v87, v86
	v_mul_f16_e64 v87, 0xbb7b, v204
	v_fmamk_f16 v89, v75, 0xb5ac, v87
	s_delay_alu instid0(VALU_DEP_1) | instskip(SKIP_1) | instid1(VALU_DEP_1)
	v_add_f16_e32 v60, v89, v60
	v_mul_f16_e64 v89, 0xb94e, v221
	v_fmamk_f16 v91, v63, 0xb9fd, v89
	s_delay_alu instid0(VALU_DEP_1) | instskip(SKIP_1) | instid1(VALU_DEP_1)
	v_add_f16_e64 v91, v91, v196
	v_mul_f16_e64 v196, 0x2fb7, v208
	v_fma_f16 v93, 0xbbf1, v71, v196
	v_fmac_f16_e64 v196, 0x3bf1, v71
	s_delay_alu instid0(VALU_DEP_2) | instskip(SKIP_1) | instid1(VALU_DEP_1)
	v_add_f16_e32 v86, v93, v86
	v_mul_f16_e64 v93, 0xb3a8, v206
	v_fmamk_f16 v96, v70, 0xbbc4, v93
	s_delay_alu instid0(VALU_DEP_1) | instskip(SKIP_1) | instid1(VALU_DEP_1)
	v_add_f16_e32 v60, v96, v60
	v_mul_f16_e64 v96, 0x394e, v210
	v_fmamk_f16 v98, v69, 0xb9fd, v96
	s_delay_alu instid0(VALU_DEP_1) | instskip(SKIP_1) | instid1(VALU_DEP_1)
	v_add_f16_e32 v60, v98, v60
	v_mul_f16_e64 v98, 0x3bf1, v215
	v_fmamk_f16 v100, v65, 0x2fb7, v98
	s_delay_alu instid0(VALU_DEP_1) | instskip(SKIP_3) | instid1(VALU_DEP_3)
	v_add_f16_e32 v60, v100, v60
	v_mul_f16_e64 v100, 0x388b, v198
	v_fma_f16 v198, 0x3770, v62, v78
	v_fmac_f16_e32 v78, 0xb770, v62
	v_fmamk_f16 v102, v74, 0x3a95, v100
	s_delay_alu instid0(VALU_DEP_3) | instskip(SKIP_3) | instid1(VALU_DEP_4)
	v_add_f16_e64 v198, v184, v198
	v_fmac_f16_e32 v100, 0xba95, v74
	v_fma_f16 v74, v75, 0xb5ac, -v87
	v_add_f16_e64 v78, v184, v78
	v_add_f16_e64 v102, v102, v198
	v_mul_f16_e64 v198, 0x3b15, v212
	s_delay_alu instid0(VALU_DEP_3) | instskip(NEXT) | instid1(VALU_DEP_2)
	v_add_f16_e32 v78, v100, v78
	v_fma_f16 v105, 0xb770, v214, v198
	v_fmac_f16_e64 v198, 0x3770, v214
	s_delay_alu instid0(VALU_DEP_2) | instskip(SKIP_1) | instid1(VALU_DEP_1)
	v_add_f16_e32 v86, v105, v86
	v_mul_f16_e64 v105, 0x3770, v221
	v_fmamk_f16 v107, v63, 0x3b15, v105
	s_delay_alu instid0(VALU_DEP_1) | instskip(SKIP_2) | instid1(VALU_DEP_3)
	v_add_f16_e32 v60, v107, v60
	v_add_f16_e64 v107, v185, v184
	v_mul_f16_e64 v185, 0x2fb7, v200
	v_pack_b32_f16 v60, v60, v86
	s_delay_alu instid0(VALU_DEP_3) | instskip(NEXT) | instid1(VALU_DEP_3)
	v_add_f16_e64 v107, v190, v107
	v_fma_f16 v190, 0x3bf1, v73, v185
	v_fmac_f16_e64 v185, 0xbbf1, v73
	v_fma_f16 v73, v70, 0xbbc4, -v93
	s_delay_alu instid0(VALU_DEP_4) | instskip(SKIP_2) | instid1(VALU_DEP_3)
	v_add_f16_e64 v107, v188, v107
	v_mul_f16_e64 v188, 0xb5ac, v202
	v_add_f16_e64 v102, v190, v102
	v_add_f16_e64 v107, v189, v107
	s_delay_alu instid0(VALU_DEP_3)
	v_fma_f16 v190, 0x3b7b, v72, v188
	v_mul_f16_e64 v189, 0xb9fd, v208
	v_fmac_f16_e64 v188, 0xbb7b, v72
	v_fma_f16 v72, v65, 0x2fb7, -v98
	v_add_f16_e64 v107, v186, v107
	v_add_f16_e64 v102, v190, v102
	v_fma_f16 v190, 0x394e, v71, v189
	v_mul_f16_e64 v186, 0xba95, v204
	v_fmac_f16_e64 v189, 0xb94e, v71
	v_add_f16_e64 v107, v187, v107
	v_mul_f16_e64 v187, 0xbbf1, v206
	v_add_f16_e64 v102, v190, v102
	v_fma_f16 v190, 0x388b, v75, v186
	v_fma_f16 v71, v63, 0x3b15, -v105
	v_add_f16_e64 v107, v195, v107
	v_mul_f16_e64 v195, 0xbbc4, v212
	s_delay_alu instid0(VALU_DEP_4) | instskip(SKIP_1) | instid1(VALU_DEP_4)
	v_add_f16_e64 v190, v190, v197
	v_fma_f16 v197, 0x2fb7, v70, v187
	v_add_f16_e64 v107, v193, v107
	v_mul_f16_e64 v193, 0xbb7b, v210
	s_delay_alu instid0(VALU_DEP_3) | instskip(NEXT) | instid1(VALU_DEP_3)
	v_add_f16_e64 v190, v197, v190
	v_add_f16_e64 v107, v194, v107
	v_fma_f16 v197, 0x33a8, v214, v195
	v_mul_f16_e64 v194, 0xb94e, v215
	v_fmac_f16_e64 v195, 0xb3a8, v214
	s_delay_alu instid0(VALU_DEP_4) | instskip(NEXT) | instid1(VALU_DEP_4)
	v_add_f16_e64 v107, v191, v107
	v_add_f16_e64 v102, v197, v102
	v_fma_f16 v197, 0xb5ac, v69, v193
	v_mul_f16_e64 v191, 0xb3a8, v221
	s_delay_alu instid0(VALU_DEP_4) | instskip(SKIP_1) | instid1(VALU_DEP_4)
	v_add_f16_e64 v107, v192, v107
	v_fma_f16 v192, v69, 0x2fb7, -v238
	v_add_f16_e64 v190, v197, v190
	v_fma_f16 v197, 0xb9fd, v65, v194
	s_delay_alu instid0(VALU_DEP_4) | instskip(SKIP_1) | instid1(VALU_DEP_3)
	v_add_f16_e32 v107, v114, v107
	v_fma_f16 v114, v69, 0xbbc4, -v226
	v_add_f16_e64 v190, v197, v190
	v_fma_f16 v197, 0xbbc4, v63, v191
	s_delay_alu instid0(VALU_DEP_4) | instskip(NEXT) | instid1(VALU_DEP_4)
	v_pack_b32_f16 v59, v59, v107
	v_add_f16_e32 v80, v114, v80
	v_fma_f16 v114, v65, 0x3b15, -v228
	s_delay_alu instid0(VALU_DEP_4) | instskip(SKIP_2) | instid1(VALU_DEP_4)
	v_add_f16_e64 v190, v197, v190
	v_fma_f16 v197, v70, 0xb5ac, -v249
	v_mov_b32_e32 v249, v118
	v_add_f16_e32 v80, v114, v80
	v_fma_f16 v114, v75, 0xb9fd, -v235
	v_mov_b32_e32 v118, v128
	v_mov_b32_e32 v128, v66
	s_delay_alu instid0(VALU_DEP_3) | instskip(SKIP_2) | instid1(VALU_DEP_2)
	v_add_f16_e32 v67, v114, v67
	v_fma_f16 v114, v70, 0x3b15, -v237
	v_fma_f16 v70, v70, 0x2fb7, -v187
	v_add_f16_e32 v67, v114, v67
	v_fma_f16 v114, v63, 0xb5ac, -v234
	s_delay_alu instid0(VALU_DEP_2) | instskip(SKIP_1) | instid1(VALU_DEP_3)
	v_add_f16_e64 v67, v192, v67
	v_fma_f16 v192, v65, 0xbbc4, -v240
	v_add_f16_e32 v80, v114, v80
	v_add_f16_e64 v114, v184, v241
	s_delay_alu instid0(VALU_DEP_3) | instskip(SKIP_4) | instid1(VALU_DEP_4)
	v_add_f16_e64 v67, v192, v67
	v_fma_f16 v192, v75, 0xbbc4, -v247
	v_mov_b32_e32 v247, v109
	v_dual_mov_b32 v109, v110 :: v_dual_mov_b32 v110, v116
	v_mov_b32_e32 v116, v126
	v_add_f16_e64 v81, v192, v81
	v_add_f16_e64 v192, v184, v253
	v_dual_mov_b32 v126, v141 :: v_dual_mov_b32 v141, v151
	v_dual_mov_b32 v151, v168 :: v_dual_mov_b32 v168, v178
	s_delay_alu instid0(VALU_DEP_3)
	v_add_f16_e64 v192, v255, v192
	v_mov_b32_e32 v178, v68
	v_fma_f16 v75, v75, 0x388b, -v186
	v_add_f16_e64 v81, v197, v81
	v_fma_f16 v197, v69, 0x3b15, -v250
	v_add_f16_e64 v192, v254, v192
	v_dual_mov_b32 v254, v123 :: v_dual_mov_b32 v123, v133
	v_dual_mov_b32 v133, v148 :: v_dual_mov_b32 v148, v61
	v_mov_b32_e32 v253, v131
	s_clause 0x2
	scratch_load_b32 v61, off, off offset:16 th:TH_LOAD_LU
	scratch_load_b32 v66, off, off offset:28 th:TH_LOAD_LU
	;; [unrolled: 1-line block ×3, first 2 shown]
	v_add_f16_e64 v81, v197, v81
	v_add_f16_e64 v114, v243, v114
	;; [unrolled: 1-line block ×3, first 2 shown]
	v_fma_f16 v197, v63, 0x388b, -v246
	v_dual_mov_b32 v255, v124 :: v_dual_mov_b32 v124, v135
	s_delay_alu instid0(VALU_DEP_4) | instskip(NEXT) | instid1(VALU_DEP_4)
	v_add_f16_e64 v114, v244, v114
	v_add_f16_e64 v62, v196, v62
	s_delay_alu instid0(VALU_DEP_4)
	v_add_f16_e64 v67, v197, v67
	v_dual_mov_b32 v135, v58 :: v_dual_mov_b32 v250, v119
	v_mov_b32_e32 v131, v173
	v_add_f16_e64 v114, v245, v114
	v_mov_b32_e32 v119, v129
	v_dual_mov_b32 v129, v144 :: v_dual_mov_b32 v144, v161
	v_mov_b32_e32 v173, v134
	s_delay_alu instid0(VALU_DEP_4)
	v_add_f16_e64 v114, v248, v114
	v_dual_mov_b32 v248, v117 :: v_dual_mov_b32 v117, v127
	v_dual_mov_b32 v127, v142 :: v_dual_mov_b32 v142, v152
	v_dual_mov_b32 v152, v169 :: v_dual_mov_b32 v161, v171
	v_mov_b32_e32 v169, v179
	v_dual_mov_b32 v179, v82 :: v_dual_mov_b32 v58, v76
	v_add_f16_e64 v87, v251, v114
	v_dual_mov_b32 v251, v120 :: v_dual_mov_b32 v120, v130
	v_mov_b32_e32 v130, v182
	v_dual_mov_b32 v134, v137 :: v_dual_mov_b32 v137, v138
	v_dual_mov_b32 v138, v139 :: v_dual_mov_b32 v139, v140
	v_mov_b32_e32 v140, v156
	v_mov_b32_e32 v156, v158
	;; [unrolled: 1-line block ×3, first 2 shown]
	v_add_f16_e64 v62, v198, v62
	v_pack_b32_f16 v67, v67, v113
	v_pack_b32_f16 v64, v80, v64
	s_wait_loadcnt 0x2
	v_add_f16_e32 v74, v74, v61
	v_add_f16_e64 v61, v75, v183
	v_fma_f16 v75, v65, 0x388b, -v252
	v_fma_f16 v65, v65, 0xb9fd, -v194
	v_mov_b32_e32 v252, v153
	v_add_f16_e32 v73, v73, v74
	v_add_f16_e32 v61, v70, v61
	v_fma_f16 v70, v69, 0xb9fd, -v96
	v_add_f16_e64 v74, v185, v78
	v_fma_f16 v69, v69, 0xb5ac, -v193
	v_add_f16_e32 v75, v75, v81
	v_mov_b32_e32 v153, v154
	v_add_f16_e32 v70, v70, v73
	v_add_f16_e64 v73, v188, v74
	v_add_f16_e32 v61, v69, v61
	v_dual_mov_b32 v154, v155 :: v_dual_mov_b32 v155, v157
	s_delay_alu instid0(VALU_DEP_4)
	v_add_f16_e32 v69, v72, v70
	v_fma_f16 v70, v63, 0xb9fd, -v89
	v_add_f16_e64 v72, v189, v73
	v_add_f16_e32 v61, v65, v61
	s_wait_loadcnt 0x0
	v_pack_b32_f16 v73, v68, v66
	v_fma_f16 v63, v63, 0xbbc4, -v191
	v_add_f16_e32 v65, v70, v75
	s_clause 0x1
	scratch_load_b32 v68, off, off offset:20 th:TH_LOAD_LU
	scratch_load_b32 v75, off, off offset:24 th:TH_LOAD_LU
	v_mov_b32_e32 v157, v111
	v_add_f16_e32 v69, v71, v69
	v_add_f16_e64 v70, v195, v72
	v_add_f16_e32 v61, v63, v61
	v_lshl_add_u32 v63, v125, 2, v112
	v_dual_mov_b32 v125, v136 :: v_dual_mov_b32 v112, v122
	v_mov_b32_e32 v136, v160
	v_pack_b32_f16 v71, v190, v102
	v_pack_b32_f16 v72, v91, v242
	;; [unrolled: 1-line block ×7, first 2 shown]
	s_wait_loadcnt 0x0
	v_pack_b32_f16 v68, v75, v68
	ds_store_2addr_b32 v63, v59, v71 offset1:1
	ds_store_2addr_b32 v63, v60, v72 offset0:2 offset1:3
	ds_store_2addr_b32 v63, v66, v73 offset0:4 offset1:5
	;; [unrolled: 1-line block ×5, first 2 shown]
	ds_store_b32 v63, v61 offset:48
.LBB0_13:
	s_wait_alu 0xfffe
	s_or_b32 exec_lo, exec_lo, s0
	v_add_nc_u32_e32 v68, 0x400, v83
	v_add_nc_u32_e32 v65, 0x800, v83
	;; [unrolled: 1-line block ×4, first 2 shown]
	global_wb scope:SCOPE_SE
	s_wait_storecnt_dscnt 0x0
	s_barrier_signal -1
	s_barrier_wait -1
	global_inv scope:SCOPE_SE
	ds_load_2addr_b32 v[63:64], v83 offset1:65
	ds_load_2addr_b32 v[59:60], v68 offset0:4 offset1:69
	ds_load_2addr_b32 v[75:76], v65 offset0:138 offset1:203
	;; [unrolled: 1-line block ×4, first 2 shown]
	v_add_nc_u32_e32 v69, 0x1000, v83
	ds_load_2addr_b32 v[81:82], v68 offset0:134 offset1:199
	ds_load_2addr_b32 v[113:114], v69 offset0:16 offset1:81
	;; [unrolled: 1-line block ×7, first 2 shown]
	ds_load_b32 v93, v83 offset:6240
	global_wb scope:SCOPE_SE
	s_wait_dscnt 0x0
	s_barrier_signal -1
	s_barrier_wait -1
	global_inv scope:SCOPE_SE
	s_mov_b32 s8, 0x6615bd85
	s_mov_b32 s9, 0x3f442a38
	v_lshrrev_b32_e32 v74, 16, v63
	v_lshrrev_b32_e32 v86, 16, v60
	;; [unrolled: 1-line block ×6, first 2 shown]
	v_mul_f16_e64 v195, v136, v86
	v_lshrrev_b32_e32 v98, 16, v76
	v_mul_f16_e64 v200, v133, v89
	v_mul_f16_e64 v133, v133, v78
	v_lshrrev_b32_e32 v100, 16, v113
	v_fmac_f16_e64 v195, v8, v60
	v_mul_f16_e64 v60, v136, v60
	v_mul_f16_e64 v136, v135, v87
	;; [unrolled: 1-line block ×3, first 2 shown]
	v_fmac_f16_e64 v200, v10, v78
	v_fma_f16 v78, v10, v89, -v133
	v_fma_f16 v60, v8, v86, -v60
	v_lshrrev_b32_e32 v8, 16, v11
	v_fmac_f16_e64 v136, v9, v75
	v_fma_f16 v75, v9, v87, -v135
	v_mul_f16_e64 v87, v131, v96
	v_mul_f16_e64 v9, v131, v81
	v_mul_f16_e32 v86, v8, v91
	v_mul_f16_e32 v8, v8, v79
	v_mul_f16_e64 v89, v128, v98
	v_lshrrev_b32_e32 v102, 16, v80
	v_lshrrev_b32_e32 v105, 16, v82
	v_fmac_f16_e32 v86, v11, v79
	v_fma_f16 v79, v11, v91, -v8
	v_fmac_f16_e32 v87, v4, v81
	v_fma_f16 v81, v4, v96, -v9
	v_fmac_f16_e32 v89, v5, v76
	v_mul_f16_e64 v4, v128, v76
	v_mul_f16_e32 v76, v125, v100
	v_mul_f16_e32 v8, v125, v113
	v_lshrrev_b32_e32 v107, 16, v184
	v_lshrrev_b32_e32 v111, 16, v114
	v_mul_f16_e32 v91, v123, v102
	v_mul_f16_e32 v9, v123, v80
	v_fma_f16 v96, v5, v98, -v4
	v_fmac_f16_e32 v76, v6, v113
	v_fma_f16 v98, v6, v100, -v8
	v_mul_f16_e64 v100, v129, v105
	v_mul_f16_e64 v4, v129, v82
	v_lshrrev_b32_e32 v6, 16, v18
	v_lshrrev_b32_e32 v115, 16, v186
	;; [unrolled: 1-line block ×4, first 2 shown]
	v_fmac_f16_e32 v91, v7, v80
	v_fma_f16 v80, v7, v102, -v9
	v_mul_f16_e32 v102, v126, v107
	v_mul_f16_e64 v5, v126, v184
	v_mul_f16_e32 v113, v6, v111
	v_fmac_f16_e32 v100, v16, v82
	v_fma_f16 v16, v16, v105, -v4
	v_mul_f16_e32 v4, v6, v114
	v_lshrrev_b32_e32 v193, 16, v190
	v_lshrrev_b32_e32 v194, 16, v187
	;; [unrolled: 1-line block ×3, first 2 shown]
	v_fmac_f16_e64 v102, v17, v184
	v_fma_f16 v17, v17, v107, -v5
	v_fmac_f16_e32 v113, v18, v114
	v_mul_f16_e32 v82, v120, v115
	v_mul_f16_e64 v5, v120, v186
	v_mul_f16_e64 v105, v130, v160
	v_mul_f16_e64 v6, v130, v188
	v_fma_f16 v18, v18, v111, -v4
	v_mul_f16_e64 v107, v127, v192
	v_mul_f16_e64 v4, v127, v185
	v_lshrrev_b32_e32 v197, 16, v77
	v_fmac_f16_e64 v82, v19, v186
	v_fma_f16 v19, v19, v115, -v5
	v_fmac_f16_e64 v105, v12, v188
	v_fma_f16 v12, v12, v160, -v6
	v_mul_f16_e64 v111, v124, v193
	v_mul_f16_e64 v5, v124, v190
	;; [unrolled: 1-line block ×3, first 2 shown]
	v_fmac_f16_e64 v107, v13, v185
	v_fma_f16 v13, v13, v192, -v4
	v_mul_f16_e64 v4, v253, v187
	v_mul_f16_e64 v7, v119, v196
	;; [unrolled: 1-line block ×3, first 2 shown]
	v_lshrrev_b32_e32 v198, 16, v191
	v_lshrrev_b32_e32 v199, 16, v93
	v_fmac_f16_e64 v111, v14, v190
	v_fma_f16 v14, v14, v193, -v5
	v_fmac_f16_e64 v114, v15, v187
	v_mul_f16_e64 v5, v118, v197
	v_mul_f16_e32 v8, v118, v77
	v_fma_f16 v15, v15, v194, -v4
	v_fmac_f16_e64 v7, v0, v189
	v_fma_f16 v4, v0, v196, -v6
	v_add_f16_e64 v0, v136, v200
	v_mul_f16_e64 v6, v117, v191
	v_add_f16_e64 v9, v63, v195
	v_fmac_f16_e32 v5, v1, v77
	v_fma_f16 v1, v1, v197, -v8
	v_mul_f16_e64 v10, v117, v198
	v_mul_f16_e64 v77, v116, v199
	v_fma_f16 v0, -0.5, v0, v63
	v_sub_f16_e32 v115, v60, v79
	v_fma_f16 v8, v2, v198, -v6
	v_add_f16_e64 v6, v9, v136
	v_fmac_f16_e64 v10, v2, v191
	v_fmac_f16_e32 v77, v3, v93
	v_fmamk_f16 v2, v115, 0xbb9c, v0
	v_sub_f16_e32 v117, v75, v78
	v_sub_f16_e64 v9, v195, v136
	v_sub_f16_e64 v11, v86, v200
	v_add_f16_e64 v118, v195, v86
	v_mul_f16_e32 v93, v116, v93
	v_add_f16_e64 v116, v6, v200
	v_fmac_f16_e32 v0, 0x3b9c, v115
	v_fmac_f16_e32 v2, 0xb8b4, v117
	v_add_f16_e32 v119, v9, v11
	v_fma_f16 v6, -0.5, v118, v63
	v_fma_f16 v11, v3, v199, -v93
	v_add_f16_e32 v3, v116, v86
	v_sub_f16_e64 v63, v136, v195
	v_sub_f16_e64 v93, v200, v86
	v_fmac_f16_e32 v0, 0x38b4, v117
	v_add_f16_e32 v116, v74, v60
	v_add_f16_e32 v118, v75, v78
	v_fmac_f16_e32 v2, 0x34f2, v119
	v_fmamk_f16 v9, v117, 0x3b9c, v6
	v_add_f16_e32 v63, v63, v93
	v_fmac_f16_e32 v6, 0xbb9c, v117
	v_add_f16_e32 v93, v116, v75
	v_fma_f16 v116, -0.5, v118, v74
	v_sub_f16_e64 v86, v195, v86
	v_fmac_f16_e32 v0, 0x34f2, v119
	v_add_f16_e32 v117, v60, v79
	v_sub_f16_e32 v119, v60, v75
	v_sub_f16_e32 v60, v75, v60
	;; [unrolled: 1-line block ×3, first 2 shown]
	v_fmac_f16_e32 v9, 0xb8b4, v115
	v_fmac_f16_e32 v6, 0x38b4, v115
	v_add_f16_e32 v93, v93, v78
	v_fmamk_f16 v115, v86, 0x3b9c, v116
	v_sub_f16_e64 v118, v136, v200
	v_sub_f16_e32 v120, v79, v78
	v_fmac_f16_e32 v74, -0.5, v117
	v_fmac_f16_e32 v116, 0xbb9c, v86
	v_add_f16_e32 v78, v89, v76
	v_add_f16_e32 v60, v60, v75
	;; [unrolled: 1-line block ×3, first 2 shown]
	v_lshrrev_b32_e32 v72, 16, v64
	v_fmac_f16_e32 v9, 0x34f2, v63
	v_fmac_f16_e32 v6, 0x34f2, v63
	v_add_f16_e32 v63, v93, v79
	v_fmac_f16_e32 v115, 0x38b4, v118
	v_add_f16_e32 v93, v119, v120
	v_fmamk_f16 v117, v118, 0xbb9c, v74
	v_fmac_f16_e32 v116, 0xb8b4, v118
	v_fma_f16 v78, -0.5, v78, v64
	v_sub_f16_e32 v79, v81, v80
	v_fmac_f16_e32 v74, 0x3b9c, v118
	v_add_f16_e32 v75, v75, v89
	v_add_f16_e32 v121, v87, v91
	v_fmac_f16_e32 v115, 0x34f2, v93
	v_fmac_f16_e32 v117, 0x38b4, v86
	;; [unrolled: 1-line block ×3, first 2 shown]
	v_fmamk_f16 v93, v79, 0xbb9c, v78
	v_sub_f16_e32 v118, v96, v98
	v_sub_f16_e32 v119, v87, v89
	;; [unrolled: 1-line block ×3, first 2 shown]
	v_fmac_f16_e32 v74, 0xb8b4, v86
	v_add_f16_e32 v75, v75, v76
	v_fmac_f16_e32 v64, -0.5, v121
	v_fmac_f16_e32 v78, 0x3b9c, v79
	v_add_f16_e32 v121, v72, v81
	v_fmac_f16_e32 v117, 0x34f2, v60
	v_fmac_f16_e32 v93, 0xb8b4, v118
	v_add_f16_e32 v86, v119, v120
	v_fmac_f16_e32 v74, 0x34f2, v60
	v_add_f16_e32 v60, v75, v91
	v_fmamk_f16 v75, v118, 0x3b9c, v64
	v_sub_f16_e32 v119, v89, v87
	v_sub_f16_e32 v120, v76, v91
	v_fmac_f16_e32 v78, 0x38b4, v118
	v_add_f16_e32 v122, v96, v98
	v_fmac_f16_e32 v64, 0xbb9c, v118
	v_add_f16_e32 v118, v121, v96
	;; [unrolled: 2-line block ×3, first 2 shown]
	v_fma_f16 v120, -0.5, v122, v72
	v_sub_f16_e32 v87, v87, v91
	v_fmac_f16_e32 v64, 0x38b4, v79
	v_add_f16_e32 v79, v118, v98
	v_add_f16_e32 v91, v81, v80
	v_fmac_f16_e32 v93, 0x34f2, v86
	v_fmac_f16_e32 v78, 0x34f2, v86
	v_fmamk_f16 v86, v87, 0x3b9c, v120
	v_sub_f16_e32 v76, v89, v76
	v_sub_f16_e32 v89, v81, v96
	v_sub_f16_e32 v118, v80, v98
	v_fmac_f16_e32 v72, -0.5, v91
	v_add_f16_e32 v79, v79, v80
	v_fmac_f16_e32 v120, 0xbb9c, v87
	v_sub_f16_e32 v81, v96, v81
	v_sub_f16_e32 v80, v98, v80
	v_fmac_f16_e32 v86, 0x38b4, v76
	v_add_f16_e32 v89, v89, v118
	v_fmamk_f16 v91, v76, 0xbb9c, v72
	v_add_f16_e32 v96, v102, v113
	v_fmac_f16_e32 v120, 0xb8b4, v76
	v_add_f16_e32 v80, v81, v80
	v_add_f16_e32 v81, v61, v100
	v_fmac_f16_e32 v72, 0x3b9c, v76
	v_add_f16_e32 v121, v100, v82
	v_lshrrev_b32_e32 v73, 16, v61
	v_fmac_f16_e32 v75, 0x34f2, v119
	v_fmac_f16_e32 v64, 0x34f2, v119
	;; [unrolled: 1-line block ×4, first 2 shown]
	v_fma_f16 v96, -0.5, v96, v61
	v_sub_f16_e32 v98, v16, v19
	v_fmac_f16_e32 v120, 0x34f2, v89
	v_add_f16_e32 v76, v81, v102
	v_sub_f16_e32 v89, v17, v18
	v_sub_f16_e32 v118, v100, v102
	;; [unrolled: 1-line block ×3, first 2 shown]
	v_fmac_f16_e32 v72, 0xb8b4, v87
	v_fma_f16 v61, -0.5, v121, v61
	v_fmac_f16_e32 v91, 0x34f2, v80
	v_fmamk_f16 v81, v98, 0xbb9c, v96
	v_add_f16_e32 v76, v76, v113
	v_add_f16_e32 v87, v118, v119
	v_fmac_f16_e32 v72, 0x34f2, v80
	v_fmac_f16_e32 v96, 0x3b9c, v98
	v_fmamk_f16 v80, v89, 0x3b9c, v61
	v_sub_f16_e32 v118, v102, v100
	v_sub_f16_e32 v119, v113, v82
	v_add_f16_e32 v121, v73, v16
	v_add_f16_e32 v122, v17, v18
	v_fmac_f16_e32 v61, 0xbb9c, v89
	v_fmac_f16_e32 v81, 0xb8b4, v89
	v_add_f16_e32 v76, v76, v82
	v_fmac_f16_e32 v96, 0x38b4, v89
	v_fmac_f16_e32 v80, 0xb8b4, v98
	v_add_f16_e32 v118, v118, v119
	v_add_f16_e32 v89, v121, v17
	v_fma_f16 v119, -0.5, v122, v73
	v_sub_f16_e32 v82, v100, v82
	v_fmac_f16_e32 v61, 0x38b4, v98
	v_add_f16_e32 v98, v16, v19
	v_sub_f16_e32 v100, v102, v113
	v_sub_f16_e32 v102, v16, v17
	;; [unrolled: 1-line block ×4, first 2 shown]
	v_fmac_f16_e32 v81, 0x34f2, v87
	v_fmac_f16_e32 v96, 0x34f2, v87
	v_add_f16_e32 v87, v89, v18
	v_fmamk_f16 v89, v82, 0x3b9c, v119
	v_sub_f16_e32 v113, v19, v18
	v_fmac_f16_e32 v73, -0.5, v98
	v_fmac_f16_e32 v119, 0xbb9c, v82
	v_add_f16_e32 v18, v107, v111
	v_add_f16_e32 v16, v16, v17
	;; [unrolled: 1-line block ×3, first 2 shown]
	v_lshrrev_b32_e32 v71, 16, v62
	v_add_f16_e32 v87, v87, v19
	v_fmac_f16_e32 v89, 0x38b4, v100
	v_add_f16_e32 v98, v102, v113
	v_fmamk_f16 v102, v100, 0xbb9c, v73
	v_fmac_f16_e32 v119, 0xb8b4, v100
	v_fma_f16 v18, -0.5, v18, v62
	v_sub_f16_e32 v19, v12, v15
	v_fmac_f16_e32 v73, 0x3b9c, v100
	v_add_f16_e32 v17, v17, v107
	v_add_f16_e32 v121, v105, v114
	v_fmac_f16_e32 v80, 0x34f2, v118
	v_fmac_f16_e32 v61, 0x34f2, v118
	;; [unrolled: 1-line block ×5, first 2 shown]
	v_fmamk_f16 v98, v19, 0xbb9c, v18
	v_sub_f16_e32 v100, v13, v14
	v_sub_f16_e32 v113, v105, v107
	;; [unrolled: 1-line block ×3, first 2 shown]
	v_fmac_f16_e32 v73, 0xb8b4, v82
	v_add_f16_e32 v17, v17, v111
	v_fmac_f16_e32 v62, -0.5, v121
	v_fmac_f16_e32 v18, 0x3b9c, v19
	v_add_f16_e32 v121, v71, v12
	v_fmac_f16_e32 v102, 0x34f2, v16
	v_fmac_f16_e32 v98, 0xb8b4, v100
	v_add_f16_e32 v82, v113, v118
	v_fmac_f16_e32 v73, 0x34f2, v16
	v_add_f16_e32 v16, v17, v114
	v_fmamk_f16 v17, v100, 0x3b9c, v62
	v_sub_f16_e32 v113, v107, v105
	v_sub_f16_e32 v118, v111, v114
	v_fmac_f16_e32 v18, 0x38b4, v100
	v_add_f16_e32 v122, v13, v14
	v_fmac_f16_e32 v62, 0xbb9c, v100
	v_add_f16_e32 v100, v121, v13
	;; [unrolled: 2-line block ×3, first 2 shown]
	v_fma_f16 v118, -0.5, v122, v71
	v_sub_f16_e32 v105, v105, v114
	v_fmac_f16_e32 v62, 0x38b4, v19
	v_add_f16_e32 v19, v100, v14
	v_add_f16_e32 v100, v12, v15
	v_fmac_f16_e32 v98, 0x34f2, v82
	v_fmac_f16_e32 v18, 0x34f2, v82
	v_fmamk_f16 v82, v105, 0x3b9c, v118
	v_sub_f16_e32 v107, v107, v111
	v_sub_f16_e32 v111, v12, v13
	;; [unrolled: 1-line block ×3, first 2 shown]
	v_fmac_f16_e32 v71, -0.5, v100
	v_fmac_f16_e32 v118, 0xbb9c, v105
	v_sub_f16_e32 v12, v13, v12
	v_sub_f16_e32 v13, v14, v15
	v_add_f16_e32 v14, v5, v10
	v_add_f16_e32 v19, v19, v15
	v_fmac_f16_e32 v82, 0x38b4, v107
	v_add_f16_e32 v100, v111, v114
	v_fmamk_f16 v111, v107, 0xbb9c, v71
	v_fmac_f16_e32 v118, 0xb8b4, v107
	v_add_f16_e32 v12, v12, v13
	v_fmac_f16_e32 v71, 0x3b9c, v107
	v_add_f16_e32 v13, v59, v7
	v_fma_f16 v14, -0.5, v14, v59
	v_sub_f16_e32 v15, v4, v11
	v_fmac_f16_e32 v17, 0x34f2, v113
	v_fmac_f16_e32 v62, 0x34f2, v113
	;; [unrolled: 1-line block ×6, first 2 shown]
	v_add_f16_e32 v13, v13, v5
	v_fmamk_f16 v100, v15, 0xbb9c, v14
	v_sub_f16_e32 v105, v1, v8
	v_sub_f16_e32 v107, v7, v5
	;; [unrolled: 1-line block ×3, first 2 shown]
	v_fmac_f16_e32 v14, 0x3b9c, v15
	v_add_f16_e32 v114, v7, v77
	v_lshrrev_b32_e32 v70, 16, v59
	v_add_f16_e32 v13, v13, v10
	v_fmac_f16_e32 v100, 0xb8b4, v105
	v_add_f16_e32 v107, v107, v113
	v_fmac_f16_e32 v14, 0x38b4, v105
	v_fmac_f16_e32 v59, -0.5, v114
	v_sub_f16_e32 v113, v5, v7
	v_sub_f16_e32 v114, v10, v77
	v_fmac_f16_e32 v111, 0x34f2, v12
	v_fmac_f16_e32 v71, 0x34f2, v12
	v_add_f16_e32 v12, v13, v77
	v_fmac_f16_e32 v100, 0x34f2, v107
	v_fmac_f16_e32 v14, 0x34f2, v107
	v_fmamk_f16 v13, v105, 0x3b9c, v59
	v_add_f16_e32 v107, v1, v8
	v_fmac_f16_e32 v59, 0xbb9c, v105
	v_add_f16_e32 v105, v70, v4
	v_sub_f16_e32 v7, v7, v77
	v_add_f16_e32 v77, v113, v114
	v_add_f16_e32 v113, v4, v11
	v_fma_f16 v107, -0.5, v107, v70
	v_fmac_f16_e32 v13, 0xb8b4, v15
	v_fmac_f16_e32 v59, 0x38b4, v15
	v_add_f16_e32 v15, v105, v1
	v_sub_f16_e32 v5, v5, v10
	v_fmac_f16_e32 v70, -0.5, v113
	v_fmamk_f16 v105, v7, 0x3b9c, v107
	v_fmac_f16_e32 v13, 0x34f2, v77
	v_add_f16_e32 v10, v15, v8
	v_sub_f16_e32 v15, v4, v1
	v_fmamk_f16 v113, v5, 0xbb9c, v70
	v_sub_f16_e32 v1, v1, v4
	v_sub_f16_e32 v4, v8, v11
	v_fmac_f16_e32 v70, 0x3b9c, v5
	v_fmac_f16_e32 v59, 0x34f2, v77
	v_sub_f16_e32 v77, v11, v8
	v_fmac_f16_e32 v107, 0xbb9c, v7
	v_fmac_f16_e32 v113, 0x38b4, v7
	v_add_f16_e32 v1, v1, v4
	v_fmac_f16_e32 v70, 0xb8b4, v7
	v_fmac_f16_e32 v105, 0x38b4, v5
	v_add_f16_e32 v8, v15, v77
	v_fmac_f16_e32 v107, 0xb8b4, v5
	v_fmac_f16_e32 v113, 0x34f2, v1
	;; [unrolled: 1-line block ×3, first 2 shown]
	v_pack_b32_f16 v1, v3, v63
	v_pack_b32_f16 v2, v2, v115
	;; [unrolled: 1-line block ×7, first 2 shown]
	v_fmac_f16_e32 v105, 0x34f2, v8
	v_fmac_f16_e32 v107, 0x34f2, v8
	v_pack_b32_f16 v8, v75, v91
	v_pack_b32_f16 v9, v64, v72
	ds_store_2addr_b32 v134, v1, v2 offset1:13
	ds_store_2addr_b32 v134, v3, v5 offset0:26 offset1:39
	ds_store_b32 v134, v0 offset:208
	ds_store_2addr_b32 v137, v6, v7 offset1:13
	ds_store_2addr_b32 v137, v8, v9 offset0:26 offset1:39
	v_pack_b32_f16 v0, v78, v120
	v_pack_b32_f16 v1, v76, v87
	v_pack_b32_f16 v2, v81, v89
	v_add_f16_e32 v4, v10, v11
	v_pack_b32_f16 v3, v80, v102
	v_pack_b32_f16 v5, v61, v73
	;; [unrolled: 1-line block ×5, first 2 shown]
	ds_store_b32 v137, v0 offset:208
	ds_store_2addr_b32 v138, v1, v2 offset1:13
	ds_store_2addr_b32 v138, v3, v5 offset0:26 offset1:39
	ds_store_b32 v138, v6 offset:208
	ds_store_2addr_b32 v139, v7, v8 offset1:13
	v_pack_b32_f16 v0, v17, v111
	v_pack_b32_f16 v1, v62, v71
	;; [unrolled: 1-line block ×8, first 2 shown]
	ds_store_2addr_b32 v139, v0, v1 offset0:26 offset1:39
	ds_store_b32 v139, v2 offset:208
	ds_store_2addr_b32 v140, v3, v4 offset1:13
	ds_store_2addr_b32 v140, v5, v6 offset0:26 offset1:39
	ds_store_b32 v140, v7 offset:208
	global_wb scope:SCOPE_SE
	s_wait_dscnt 0x0
	s_barrier_signal -1
	s_barrier_wait -1
	global_inv scope:SCOPE_SE
	ds_load_2addr_b32 v[4:5], v83 offset1:65
	ds_load_2addr_b32 v[0:1], v68 offset0:4 offset1:69
	ds_load_2addr_b32 v[11:12], v65 offset0:138 offset1:203
	;; [unrolled: 1-line block ×11, first 2 shown]
	ds_load_b32 v77, v83 offset:6240
	global_wb scope:SCOPE_SE
	s_wait_dscnt 0x0
	s_barrier_signal -1
	s_barrier_wait -1
	global_inv scope:SCOPE_SE
	v_lshrrev_b32_e32 v10, 16, v4
	v_lshrrev_b32_e32 v19, 16, v1
	;; [unrolled: 1-line block ×4, first 2 shown]
	v_mul_f16_e64 v116, v154, v14
	v_lshrrev_b32_e32 v78, 16, v17
	v_mul_f16_e64 v100, v157, v19
	v_mul_f16_e64 v113, v155, v74
	v_lshrrev_b32_e32 v76, 16, v15
	v_lshrrev_b32_e32 v79, 16, v12
	;; [unrolled: 1-line block ×3, first 2 shown]
	v_fmac_f16_e32 v100, v32, v1
	v_mul_f16_e64 v1, v157, v1
	v_mul_f16_e64 v114, v155, v11
	;; [unrolled: 1-line block ×3, first 2 shown]
	v_fmac_f16_e32 v113, v33, v11
	v_fma_f16 v75, v34, v75, -v116
	v_fma_f16 v117, v32, v19, -v1
	v_mul_f16_e64 v1, v153, v15
	v_mul_f16_e64 v116, v157, v78
	;; [unrolled: 1-line block ×3, first 2 shown]
	v_lshrrev_b32_e32 v82, 16, v18
	v_lshrrev_b32_e32 v87, 16, v60
	v_fma_f16 v74, v33, v74, -v114
	v_mul_f16_e64 v114, v153, v76
	v_mul_f16_e64 v118, v155, v79
	v_fma_f16 v76, v35, v76, -v1
	v_fmac_f16_e32 v116, v32, v17
	v_fma_f16 v32, v32, v78, -v11
	v_mul_f16_e64 v1, v155, v12
	v_mul_f16_e64 v78, v154, v80
	;; [unrolled: 1-line block ×3, first 2 shown]
	v_lshrrev_b32_e32 v86, 16, v61
	v_lshrrev_b32_e32 v89, 16, v63
	v_fmac_f16_e32 v115, v34, v14
	v_fmac_f16_e32 v118, v33, v12
	v_fma_f16 v33, v33, v79, -v1
	v_fmac_f16_e32 v78, v34, v59
	v_fma_f16 v34, v34, v80, -v11
	v_mul_f16_e64 v59, v152, v82
	v_mul_f16_e64 v1, v152, v18
	;; [unrolled: 1-line block ×3, first 2 shown]
	v_lshrrev_b32_e32 v81, 16, v16
	v_lshrrev_b32_e32 v93, 16, v62
	v_mul_f16_e64 v79, v151, v86
	v_mul_f16_e64 v11, v151, v61
	v_fmac_f16_e32 v59, v28, v18
	v_fma_f16 v28, v28, v82, -v1
	v_fmac_f16_e32 v80, v30, v60
	v_mul_f16_e64 v1, v150, v60
	v_mul_f16_e64 v60, v149, v89
	v_lshrrev_b32_e32 v91, 16, v70
	v_lshrrev_b32_e32 v98, 16, v64
	v_mul_f16_e64 v119, v153, v81
	v_mul_f16_e64 v12, v153, v16
	v_fmac_f16_e32 v79, v29, v61
	v_fma_f16 v29, v29, v86, -v11
	v_mul_f16_e64 v11, v149, v63
	v_fma_f16 v30, v30, v87, -v1
	v_fmac_f16_e32 v60, v31, v63
	v_mul_f16_e64 v63, v147, v93
	v_mul_f16_e64 v1, v147, v62
	v_lshrrev_b32_e32 v96, 16, v72
	v_lshrrev_b32_e32 v105, 16, v13
	v_fmac_f16_e32 v114, v35, v15
	v_fmac_f16_e32 v119, v35, v16
	v_fma_f16 v35, v35, v81, -v12
	v_mul_f16_e64 v61, v148, v91
	v_mul_f16_e64 v81, v145, v98
	v_fmac_f16_e32 v63, v25, v62
	v_fma_f16 v25, v25, v93, -v1
	v_mul_f16_e64 v1, v145, v64
	v_lshrrev_b32_e32 v102, 16, v71
	v_lshrrev_b32_e32 v107, 16, v73
	v_mul_f16_e64 v12, v148, v70
	v_fma_f16 v31, v31, v89, -v11
	v_fmac_f16_e32 v61, v24, v70
	v_mul_f16_e64 v70, v146, v96
	v_mul_f16_e64 v11, v146, v72
	v_fmac_f16_e32 v81, v27, v64
	v_mul_f16_e64 v14, v143, v105
	v_fma_f16 v27, v27, v98, -v1
	v_add_f16_e32 v1, v113, v115
	v_lshrrev_b32_e32 v111, 16, v77
	v_fma_f16 v24, v24, v91, -v12
	v_fmac_f16_e32 v70, v26, v72
	v_fma_f16 v26, v26, v96, -v11
	v_mul_f16_e64 v15, v144, v102
	v_mul_f16_e64 v11, v144, v71
	;; [unrolled: 1-line block ×3, first 2 shown]
	v_fmac_f16_e32 v14, v21, v13
	v_mul_f16_e64 v19, v142, v107
	v_mul_f16_e64 v13, v142, v73
	v_fma_f16 v1, -0.5, v1, v4
	v_sub_f16_e32 v62, v117, v76
	v_fmac_f16_e32 v15, v20, v71
	v_fma_f16 v11, v20, v102, -v11
	v_fma_f16 v12, v21, v105, -v12
	v_mul_f16_e64 v21, v141, v111
	v_fmac_f16_e32 v19, v22, v73
	v_fma_f16 v16, v22, v107, -v13
	v_fmamk_f16 v13, v62, 0xbb9c, v1
	v_sub_f16_e32 v22, v74, v75
	v_sub_f16_e32 v18, v100, v113
	;; [unrolled: 1-line block ×3, first 2 shown]
	v_add_f16_e32 v64, v100, v114
	v_mul_f16_e64 v71, v141, v77
	v_fmac_f16_e32 v1, 0x3b9c, v62
	v_add_f16_e32 v17, v4, v100
	v_fmac_f16_e32 v21, v23, v77
	v_fmac_f16_e32 v13, 0xb8b4, v22
	v_add_f16_e32 v72, v18, v20
	v_fma_f16 v4, -0.5, v64, v4
	v_fma_f16 v20, v23, v111, -v71
	v_sub_f16_e32 v23, v113, v100
	v_sub_f16_e32 v64, v115, v114
	v_fmac_f16_e32 v1, 0x38b4, v22
	v_add_f16_e32 v71, v10, v117
	v_add_f16_e32 v73, v74, v75
	v_fmac_f16_e32 v13, 0x34f2, v72
	v_fmamk_f16 v18, v22, 0x3b9c, v4
	v_add_f16_e32 v23, v23, v64
	v_fmac_f16_e32 v4, 0xbb9c, v22
	v_add_f16_e32 v22, v71, v74
	v_fma_f16 v64, -0.5, v73, v10
	v_sub_f16_e32 v71, v100, v114
	v_fmac_f16_e32 v1, 0x34f2, v72
	v_add_f16_e32 v72, v117, v76
	v_fmac_f16_e32 v18, 0xb8b4, v62
	v_fmac_f16_e32 v4, 0x38b4, v62
	v_add_f16_e32 v22, v22, v75
	v_fmamk_f16 v62, v71, 0x3b9c, v64
	v_sub_f16_e32 v73, v113, v115
	v_sub_f16_e32 v77, v117, v74
	;; [unrolled: 1-line block ×3, first 2 shown]
	v_fmac_f16_e32 v10, -0.5, v72
	v_fmac_f16_e32 v64, 0xbb9c, v71
	v_sub_f16_e32 v74, v74, v117
	v_sub_f16_e32 v75, v75, v76
	v_fmac_f16_e32 v18, 0x34f2, v23
	v_fmac_f16_e32 v4, 0x34f2, v23
	v_add_f16_e32 v22, v22, v76
	v_fmac_f16_e32 v62, 0x38b4, v73
	v_add_f16_e32 v23, v77, v82
	v_fmamk_f16 v72, v73, 0xbb9c, v10
	v_add_f16_e32 v76, v118, v78
	v_fmac_f16_e32 v64, 0xb8b4, v73
	v_add_f16_e32 v74, v74, v75
	v_add_f16_e32 v75, v5, v116
	v_fmac_f16_e32 v10, 0x3b9c, v73
	v_add_f16_e32 v87, v116, v119
	v_lshrrev_b32_e32 v8, 16, v5
	v_fmac_f16_e32 v62, 0x34f2, v23
	v_fmac_f16_e32 v72, 0x38b4, v71
	v_fma_f16 v76, -0.5, v76, v5
	v_sub_f16_e32 v77, v32, v35
	v_fmac_f16_e32 v64, 0x34f2, v23
	v_add_f16_e32 v23, v75, v118
	v_sub_f16_e32 v75, v33, v34
	v_sub_f16_e32 v82, v116, v118
	;; [unrolled: 1-line block ×3, first 2 shown]
	v_fmac_f16_e32 v10, 0xb8b4, v71
	v_fmac_f16_e32 v5, -0.5, v87
	v_fmac_f16_e32 v72, 0x34f2, v74
	v_fmamk_f16 v73, v77, 0xbb9c, v76
	v_add_f16_e32 v71, v82, v86
	v_fmac_f16_e32 v10, 0x34f2, v74
	v_fmac_f16_e32 v76, 0x3b9c, v77
	v_fmamk_f16 v74, v75, 0x3b9c, v5
	v_sub_f16_e32 v82, v118, v116
	v_sub_f16_e32 v86, v78, v119
	v_add_f16_e32 v87, v8, v32
	v_add_f16_e32 v89, v33, v34
	v_fmac_f16_e32 v5, 0xbb9c, v75
	v_fmac_f16_e32 v73, 0xb8b4, v75
	;; [unrolled: 1-line block ×4, first 2 shown]
	v_add_f16_e32 v82, v82, v86
	v_add_f16_e32 v75, v87, v33
	v_fma_f16 v86, -0.5, v89, v8
	v_sub_f16_e32 v87, v116, v119
	v_fmac_f16_e32 v5, 0x38b4, v77
	v_add_f16_e32 v77, v32, v35
	v_sub_f16_e32 v89, v32, v33
	v_sub_f16_e32 v32, v33, v32
	;; [unrolled: 1-line block ×3, first 2 shown]
	v_add_f16_e32 v23, v23, v78
	v_fmac_f16_e32 v73, 0x34f2, v71
	v_fmac_f16_e32 v76, 0x34f2, v71
	v_add_f16_e32 v71, v75, v34
	v_fmamk_f16 v75, v87, 0x3b9c, v86
	v_sub_f16_e32 v78, v118, v78
	v_sub_f16_e32 v91, v35, v34
	v_fmac_f16_e32 v8, -0.5, v77
	v_fmac_f16_e32 v86, 0xbb9c, v87
	v_add_f16_e32 v34, v79, v80
	v_add_f16_e32 v32, v32, v33
	;; [unrolled: 1-line block ×3, first 2 shown]
	v_lshrrev_b32_e32 v9, 16, v2
	v_fmac_f16_e32 v74, 0x34f2, v82
	v_fmac_f16_e32 v5, 0x34f2, v82
	v_add_f16_e32 v71, v71, v35
	v_fmac_f16_e32 v75, 0x38b4, v78
	v_add_f16_e32 v77, v89, v91
	v_fmamk_f16 v82, v78, 0xbb9c, v8
	v_fmac_f16_e32 v86, 0xb8b4, v78
	v_fma_f16 v34, -0.5, v34, v2
	v_sub_f16_e32 v35, v28, v31
	v_fmac_f16_e32 v8, 0x3b9c, v78
	v_add_f16_e32 v33, v33, v79
	v_add_f16_e32 v93, v59, v60
	v_fmac_f16_e32 v75, 0x34f2, v77
	v_fmac_f16_e32 v82, 0x38b4, v87
	;; [unrolled: 1-line block ×3, first 2 shown]
	v_fmamk_f16 v77, v35, 0xbb9c, v34
	v_sub_f16_e32 v78, v29, v30
	v_sub_f16_e32 v89, v59, v79
	;; [unrolled: 1-line block ×3, first 2 shown]
	v_fmac_f16_e32 v8, 0xb8b4, v87
	v_add_f16_e32 v33, v33, v80
	v_fma_f16 v2, -0.5, v93, v2
	v_fmac_f16_e32 v34, 0x3b9c, v35
	v_add_f16_e32 v93, v9, v28
	v_fmac_f16_e32 v82, 0x34f2, v32
	v_fmac_f16_e32 v77, 0xb8b4, v78
	v_add_f16_e32 v87, v89, v91
	v_fmac_f16_e32 v8, 0x34f2, v32
	v_add_f16_e32 v32, v33, v60
	v_fmamk_f16 v33, v78, 0x3b9c, v2
	v_sub_f16_e32 v89, v79, v59
	v_sub_f16_e32 v91, v80, v60
	v_fmac_f16_e32 v34, 0x38b4, v78
	v_add_f16_e32 v96, v29, v30
	v_fmac_f16_e32 v2, 0xbb9c, v78
	v_add_f16_e32 v78, v93, v29
	;; [unrolled: 2-line block ×3, first 2 shown]
	v_fma_f16 v91, -0.5, v96, v9
	v_sub_f16_e32 v59, v59, v60
	v_fmac_f16_e32 v2, 0x38b4, v35
	v_add_f16_e32 v35, v78, v30
	v_add_f16_e32 v78, v28, v31
	v_sub_f16_e32 v79, v79, v80
	v_sub_f16_e32 v80, v28, v29
	;; [unrolled: 1-line block ×4, first 2 shown]
	v_fmac_f16_e32 v77, 0x34f2, v87
	v_fmac_f16_e32 v34, 0x34f2, v87
	v_fmamk_f16 v60, v59, 0x3b9c, v91
	v_sub_f16_e32 v87, v31, v30
	v_fmac_f16_e32 v9, -0.5, v78
	v_fmac_f16_e32 v91, 0xbb9c, v59
	v_add_f16_e32 v30, v63, v70
	v_add_f16_e32 v28, v28, v29
	;; [unrolled: 1-line block ×3, first 2 shown]
	v_lshrrev_b32_e32 v7, 16, v3
	v_add_f16_e32 v35, v35, v31
	v_fmac_f16_e32 v60, 0x38b4, v79
	v_add_f16_e32 v78, v80, v87
	v_fmamk_f16 v80, v79, 0xbb9c, v9
	v_fmac_f16_e32 v91, 0xb8b4, v79
	v_fma_f16 v30, -0.5, v30, v3
	v_sub_f16_e32 v31, v24, v27
	v_fmac_f16_e32 v9, 0x3b9c, v79
	v_add_f16_e32 v29, v29, v63
	v_add_f16_e32 v93, v61, v81
	v_fmac_f16_e32 v33, 0x34f2, v89
	v_fmac_f16_e32 v2, 0x34f2, v89
	;; [unrolled: 1-line block ×5, first 2 shown]
	v_fmamk_f16 v78, v31, 0xbb9c, v30
	v_sub_f16_e32 v79, v25, v26
	v_sub_f16_e32 v87, v61, v63
	;; [unrolled: 1-line block ×3, first 2 shown]
	v_fmac_f16_e32 v9, 0xb8b4, v59
	v_add_f16_e32 v29, v29, v70
	v_fmac_f16_e32 v3, -0.5, v93
	v_fmac_f16_e32 v30, 0x3b9c, v31
	v_add_f16_e32 v93, v7, v24
	v_fmac_f16_e32 v80, 0x34f2, v28
	v_fmac_f16_e32 v78, 0xb8b4, v79
	v_add_f16_e32 v59, v87, v89
	v_fmac_f16_e32 v9, 0x34f2, v28
	v_add_f16_e32 v28, v29, v81
	v_fmamk_f16 v29, v79, 0x3b9c, v3
	v_sub_f16_e32 v87, v63, v61
	v_sub_f16_e32 v89, v70, v81
	v_fmac_f16_e32 v30, 0x38b4, v79
	v_add_f16_e32 v96, v25, v26
	v_fmac_f16_e32 v3, 0xbb9c, v79
	v_add_f16_e32 v79, v93, v25
	;; [unrolled: 2-line block ×3, first 2 shown]
	v_fma_f16 v89, -0.5, v96, v7
	v_sub_f16_e32 v61, v61, v81
	v_fmac_f16_e32 v3, 0x38b4, v31
	v_add_f16_e32 v31, v79, v26
	v_add_f16_e32 v79, v24, v27
	v_fmac_f16_e32 v78, 0x34f2, v59
	v_fmac_f16_e32 v30, 0x34f2, v59
	v_fmamk_f16 v59, v61, 0x3b9c, v89
	v_sub_f16_e32 v63, v63, v70
	v_sub_f16_e32 v70, v24, v25
	;; [unrolled: 1-line block ×3, first 2 shown]
	v_fmac_f16_e32 v7, -0.5, v79
	v_fmac_f16_e32 v89, 0xbb9c, v61
	v_sub_f16_e32 v24, v25, v24
	v_sub_f16_e32 v25, v26, v27
	v_add_f16_e32 v26, v14, v19
	v_add_f16_e32 v31, v31, v27
	v_fmac_f16_e32 v59, 0x38b4, v63
	v_add_f16_e32 v70, v70, v81
	v_fmamk_f16 v79, v63, 0xbb9c, v7
	v_fmac_f16_e32 v89, 0xb8b4, v63
	v_add_f16_e32 v24, v24, v25
	v_fmac_f16_e32 v7, 0x3b9c, v63
	v_add_f16_e32 v25, v0, v15
	v_fma_f16 v26, -0.5, v26, v0
	v_sub_f16_e32 v27, v11, v20
	v_fmac_f16_e32 v29, 0x34f2, v87
	v_fmac_f16_e32 v3, 0x34f2, v87
	v_fmac_f16_e32 v59, 0x34f2, v70
	v_fmac_f16_e32 v79, 0x38b4, v61
	v_fmac_f16_e32 v89, 0x34f2, v70
	v_fmac_f16_e32 v7, 0xb8b4, v61
	v_add_f16_e32 v25, v25, v14
	v_fmamk_f16 v61, v27, 0xbb9c, v26
	v_sub_f16_e32 v63, v12, v16
	v_sub_f16_e32 v70, v15, v14
	;; [unrolled: 1-line block ×3, first 2 shown]
	v_fmac_f16_e32 v26, 0x3b9c, v27
	v_add_f16_e32 v87, v15, v21
	v_lshrrev_b32_e32 v6, 16, v0
	v_add_f16_e32 v25, v25, v19
	v_fmac_f16_e32 v61, 0xb8b4, v63
	v_add_f16_e32 v70, v70, v81
	v_fmac_f16_e32 v26, 0x38b4, v63
	v_fmac_f16_e32 v0, -0.5, v87
	v_sub_f16_e32 v81, v14, v15
	v_sub_f16_e32 v87, v19, v21
	v_fmac_f16_e32 v79, 0x34f2, v24
	v_fmac_f16_e32 v7, 0x34f2, v24
	v_add_f16_e32 v24, v25, v21
	v_fmac_f16_e32 v61, 0x34f2, v70
	v_fmac_f16_e32 v26, 0x34f2, v70
	v_fmamk_f16 v25, v63, 0x3b9c, v0
	v_add_f16_e32 v70, v12, v16
	v_fmac_f16_e32 v0, 0xbb9c, v63
	v_sub_f16_e32 v15, v15, v21
	v_add_f16_e32 v21, v81, v87
	v_add_f16_e32 v81, v11, v20
	;; [unrolled: 1-line block ×4, first 2 shown]
	v_fma_f16 v70, -0.5, v70, v6
	v_fmac_f16_e32 v25, 0xb8b4, v27
	v_fmac_f16_e32 v0, 0x38b4, v27
	v_sub_f16_e32 v14, v14, v19
	v_fmac_f16_e32 v6, -0.5, v81
	v_add_f16_e32 v27, v63, v12
	v_add_f16_e32 v17, v17, v115
	v_fmac_f16_e32 v25, 0x34f2, v21
	v_fmac_f16_e32 v0, 0x34f2, v21
	v_sub_f16_e32 v21, v11, v12
	v_fmamk_f16 v81, v14, 0xbb9c, v6
	v_sub_f16_e32 v11, v12, v11
	v_sub_f16_e32 v12, v16, v20
	v_fmac_f16_e32 v6, 0x3b9c, v14
	v_fmamk_f16 v63, v15, 0x3b9c, v70
	v_add_f16_e32 v19, v27, v16
	v_sub_f16_e32 v27, v20, v16
	v_fmac_f16_e32 v70, 0xbb9c, v15
	v_add_f16_e32 v17, v17, v114
	v_fmac_f16_e32 v81, 0x38b4, v15
	v_add_f16_e32 v11, v11, v12
	;; [unrolled: 2-line block ×4, first 2 shown]
	v_fmac_f16_e32 v70, 0xb8b4, v14
	v_fmac_f16_e32 v81, 0x34f2, v11
	;; [unrolled: 1-line block ×3, first 2 shown]
	v_pack_b32_f16 v11, v17, v22
	v_pack_b32_f16 v13, v13, v62
	;; [unrolled: 1-line block ×6, first 2 shown]
	v_fmac_f16_e32 v63, 0x34f2, v16
	v_fmac_f16_e32 v70, 0x34f2, v16
	v_pack_b32_f16 v15, v73, v75
	v_pack_b32_f16 v16, v74, v82
	ds_store_2addr_b32 v83, v11, v13 offset1:65
	ds_store_2addr_b32 v83, v14, v4 offset0:130 offset1:195
	ds_store_2addr_b32 v68, v1, v10 offset0:4 offset1:69
	;; [unrolled: 1-line block ×3, first 2 shown]
	v_pack_b32_f16 v1, v5, v8
	v_pack_b32_f16 v4, v76, v86
	;; [unrolled: 1-line block ×4, first 2 shown]
	v_add_nc_u32_e32 v10, 0x800, v156
	v_add_f16_e32 v12, v19, v20
	v_pack_b32_f16 v11, v33, v80
	v_pack_b32_f16 v2, v2, v9
	v_add_nc_u32_e32 v9, 0xc00, v156
	ds_store_2addr_b32 v65, v1, v4 offset0:8 offset1:73
	ds_store_2addr_b32 v10, v5, v8 offset0:138 offset1:203
	;; [unrolled: 1-line block ×3, first 2 shown]
	v_pack_b32_f16 v2, v29, v79
	v_pack_b32_f16 v3, v3, v7
	v_add_nc_u32_e32 v4, 0x1000, v158
	v_pack_b32_f16 v13, v28, v31
	v_pack_b32_f16 v14, v78, v59
	v_add_nc_u32_e32 v15, 0xe00, v158
	;; [unrolled: 3-line block ×3, first 2 shown]
	v_pack_b32_f16 v9, v25, v81
	v_pack_b32_f16 v0, v0, v6
	;; [unrolled: 1-line block ×3, first 2 shown]
	ds_store_2addr_b32 v4, v2, v3 offset0:81 offset1:146
	v_pack_b32_f16 v2, v30, v89
	v_pack_b32_f16 v3, v26, v70
	ds_store_2addr_b32 v15, v13, v14 offset0:79 offset1:144
	ds_store_2addr_b32 v8, v5, v7 offset0:20 offset1:85
	;; [unrolled: 1-line block ×3, first 2 shown]
	ds_store_b32 v156, v1 offset:3640
	ds_store_b32 v158, v2 offset:4940
	;; [unrolled: 1-line block ×3, first 2 shown]
	global_wb scope:SCOPE_SE
	s_wait_dscnt 0x0
	s_barrier_signal -1
	s_barrier_wait -1
	global_inv scope:SCOPE_SE
	ds_load_2addr_b32 v[4:5], v83 offset1:65
	ds_load_2addr_b32 v[0:1], v68 offset0:4 offset1:69
	ds_load_2addr_b32 v[11:12], v65 offset0:138 offset1:203
	;; [unrolled: 1-line block ×11, first 2 shown]
	ds_load_b32 v33, v83 offset:6240
	s_wait_dscnt 0xc
	v_lshrrev_b32_e32 v10, 16, v4
	s_wait_dscnt 0xb
	v_lshrrev_b32_e32 v13, 16, v1
	;; [unrolled: 2-line block ×6, first 2 shown]
	v_mul_f16_e64 v69, v168, v13
	v_lshrrev_b32_e32 v35, 16, v12
	v_mul_f16_e64 v74, v167, v30
	v_mul_f16_e64 v75, v167, v11
	;; [unrolled: 1-line block ×3, first 2 shown]
	v_fmac_f16_e32 v69, v40, v1
	v_mul_f16_e64 v1, v168, v1
	v_mul_f16_e64 v77, v166, v15
	s_wait_dscnt 0x6
	v_lshrrev_b32_e32 v59, 16, v20
	v_lshrrev_b32_e32 v60, 16, v17
	v_fmac_f16_e32 v74, v41, v11
	v_fma_f16 v40, v40, v13, -v1
	v_fma_f16 v30, v41, v30, -v75
	v_fmac_f16_e32 v76, v42, v15
	v_fma_f16 v31, v42, v31, -v77
	v_mul_f16_e64 v41, v165, v32
	v_mul_f16_e64 v1, v165, v16
	;; [unrolled: 1-line block ×5, first 2 shown]
	v_lshrrev_b32_e32 v61, 16, v19
	s_wait_dscnt 0x4
	v_lshrrev_b32_e32 v62, 16, v22
	v_fmac_f16_e32 v41, v43, v16
	v_fma_f16 v32, v43, v32, -v1
	v_fmac_f16_e32 v42, v36, v18
	v_fma_f16 v34, v36, v34, -v11
	v_fmac_f16_e32 v75, v37, v12
	v_mul_f16_e64 v1, v163, v12
	v_mul_f16_e64 v36, v162, v59
	v_mul_f16_e64 v11, v162, v20
	v_mul_f16_e64 v43, v161, v60
	v_mul_f16_e64 v12, v161, v17
	v_lshrrev_b32_e32 v63, 16, v21
	s_wait_dscnt 0x2
	v_lshrrev_b32_e32 v65, 16, v26
	v_fma_f16 v35, v37, v35, -v1
	v_fmac_f16_e32 v36, v38, v20
	v_fma_f16 v20, v38, v59, -v11
	v_fmac_f16_e32 v43, v39, v17
	v_fma_f16 v37, v39, v60, -v12
	v_mul_f16_e64 v38, v176, v61
	v_mul_f16_e64 v1, v176, v19
	;; [unrolled: 1-line block ×4, first 2 shown]
	v_lshrrev_b32_e32 v64, 16, v24
	v_lshrrev_b32_e32 v66, 16, v23
	v_mul_f16_e64 v59, v174, v63
	v_fmac_f16_e32 v38, v52, v19
	v_fma_f16 v52, v52, v61, -v1
	v_fmac_f16_e32 v39, v53, v22
	v_fma_f16 v22, v53, v62, -v11
	v_mul_f16_e64 v1, v174, v21
	v_mul_f16_e64 v53, v179, v65
	;; [unrolled: 1-line block ×3, first 2 shown]
	s_wait_dscnt 0x1
	v_lshrrev_b32_e32 v67, 16, v28
	v_lshrrev_b32_e32 v68, 16, v25
	;; [unrolled: 1-line block ×3, first 2 shown]
	v_fmac_f16_e32 v59, v54, v21
	v_mul_f16_e64 v21, v177, v64
	v_mul_f16_e64 v11, v177, v24
	v_fma_f16 v54, v54, v63, -v1
	v_fmac_f16_e32 v53, v48, v26
	v_fma_f16 v26, v48, v65, -v12
	v_mul_f16_e64 v48, v169, v66
	v_mul_f16_e64 v1, v169, v23
	v_lshrrev_b32_e32 v70, 16, v27
	v_lshrrev_b32_e32 v72, 16, v29
	v_fmac_f16_e32 v21, v55, v24
	v_fma_f16 v24, v55, v64, -v11
	v_mul_f16_e64 v55, v175, v67
	v_mul_f16_e64 v11, v175, v28
	v_mul_f16_e64 v60, v172, v68
	v_fmac_f16_e32 v48, v49, v23
	v_fma_f16 v23, v49, v66, -v1
	v_mul_f16_e64 v1, v172, v25
	v_mul_f16_e64 v13, v173, v71
	s_wait_dscnt 0x0
	v_lshrrev_b32_e32 v73, 16, v33
	v_fmac_f16_e32 v55, v50, v28
	v_fma_f16 v28, v50, v67, -v11
	v_fmac_f16_e32 v60, v51, v25
	v_mul_f16_e32 v15, v58, v70
	v_mul_f16_e32 v11, v58, v27
	v_mul_f16_e64 v12, v173, v14
	v_fma_f16 v25, v51, v68, -v1
	v_fmac_f16_e32 v13, v45, v14
	v_add_f16_e32 v1, v74, v76
	v_mul_f16_e64 v17, v170, v72
	v_mul_f16_e64 v14, v170, v29
	v_add_f16_e32 v18, v4, v69
	v_fmac_f16_e32 v15, v44, v27
	v_fma_f16 v11, v44, v70, -v11
	v_mul_f16_e64 v27, v132, v73
	v_fma_f16 v1, -0.5, v1, v4
	v_sub_f16_e32 v44, v40, v32
	v_fmac_f16_e32 v17, v46, v29
	v_fma_f16 v16, v46, v72, -v14
	v_add_f16_e32 v18, v18, v74
	v_add_f16_e32 v46, v69, v41
	v_fma_f16 v12, v45, v71, -v12
	v_fmac_f16_e32 v27, v47, v33
	v_fmamk_f16 v14, v44, 0xbb9c, v1
	v_sub_f16_e32 v29, v30, v31
	v_sub_f16_e32 v19, v69, v74
	;; [unrolled: 1-line block ×3, first 2 shown]
	v_mul_f16_e64 v33, v132, v33
	v_add_f16_e32 v18, v18, v76
	v_fma_f16 v4, -0.5, v46, v4
	v_fmac_f16_e32 v1, 0x3b9c, v44
	v_add_f16_e32 v49, v10, v40
	v_fmac_f16_e32 v14, 0xb8b4, v29
	v_add_f16_e32 v45, v19, v45
	v_fma_f16 v33, v47, v73, -v33
	v_add_f16_e32 v19, v18, v41
	v_fmamk_f16 v18, v29, 0x3b9c, v4
	v_sub_f16_e32 v46, v74, v69
	v_sub_f16_e32 v47, v76, v41
	v_fmac_f16_e32 v1, 0x38b4, v29
	v_add_f16_e32 v50, v30, v31
	v_fmac_f16_e32 v4, 0xbb9c, v29
	v_add_f16_e32 v29, v49, v30
	;; [unrolled: 2-line block ×3, first 2 shown]
	v_fma_f16 v47, -0.5, v50, v10
	v_sub_f16_e32 v41, v69, v41
	v_fmac_f16_e32 v1, 0x34f2, v45
	v_add_f16_e32 v29, v29, v31
	v_add_f16_e32 v45, v40, v32
	v_sub_f16_e32 v50, v40, v30
	v_sub_f16_e32 v51, v32, v31
	;; [unrolled: 1-line block ×4, first 2 shown]
	v_fmac_f16_e32 v18, 0xb8b4, v44
	v_fmac_f16_e32 v4, 0x38b4, v44
	v_fmamk_f16 v44, v41, 0x3b9c, v47
	v_sub_f16_e32 v49, v74, v76
	v_fmac_f16_e32 v10, -0.5, v45
	v_add_f16_e32 v29, v29, v32
	v_fmac_f16_e32 v47, 0xbb9c, v41
	v_add_f16_e32 v32, v75, v36
	v_add_f16_e32 v30, v30, v31
	;; [unrolled: 1-line block ×3, first 2 shown]
	v_lshrrev_b32_e32 v9, 16, v5
	v_fmac_f16_e32 v18, 0x34f2, v46
	v_fmac_f16_e32 v4, 0x34f2, v46
	;; [unrolled: 1-line block ×3, first 2 shown]
	v_add_f16_e32 v45, v50, v51
	v_fmamk_f16 v46, v49, 0xbb9c, v10
	v_fmac_f16_e32 v47, 0xb8b4, v49
	v_fma_f16 v32, -0.5, v32, v5
	v_sub_f16_e32 v40, v34, v37
	v_fmac_f16_e32 v10, 0x3b9c, v49
	v_add_f16_e32 v31, v31, v75
	v_add_f16_e32 v61, v42, v43
	v_fmac_f16_e32 v44, 0x34f2, v45
	v_fmac_f16_e32 v46, 0x38b4, v41
	;; [unrolled: 1-line block ×3, first 2 shown]
	v_fmamk_f16 v45, v40, 0xbb9c, v32
	v_sub_f16_e32 v49, v35, v20
	v_sub_f16_e32 v50, v42, v75
	;; [unrolled: 1-line block ×3, first 2 shown]
	v_fmac_f16_e32 v10, 0xb8b4, v41
	v_add_f16_e32 v31, v31, v36
	v_fmac_f16_e32 v5, -0.5, v61
	v_fmac_f16_e32 v32, 0x3b9c, v40
	v_add_f16_e32 v61, v9, v34
	v_fmac_f16_e32 v46, 0x34f2, v30
	v_fmac_f16_e32 v45, 0xb8b4, v49
	v_add_f16_e32 v41, v50, v51
	v_fmac_f16_e32 v10, 0x34f2, v30
	v_add_f16_e32 v30, v31, v43
	v_fmamk_f16 v31, v49, 0x3b9c, v5
	v_sub_f16_e32 v50, v75, v42
	v_sub_f16_e32 v51, v36, v43
	v_fmac_f16_e32 v32, 0x38b4, v49
	v_add_f16_e32 v62, v35, v20
	v_fmac_f16_e32 v5, 0xbb9c, v49
	v_add_f16_e32 v49, v61, v35
	;; [unrolled: 2-line block ×3, first 2 shown]
	v_fma_f16 v51, -0.5, v62, v9
	v_sub_f16_e32 v42, v42, v43
	v_fmac_f16_e32 v5, 0x38b4, v40
	v_add_f16_e32 v40, v49, v20
	v_add_f16_e32 v43, v34, v37
	v_sub_f16_e32 v49, v34, v35
	v_sub_f16_e32 v61, v37, v20
	;; [unrolled: 1-line block ×4, first 2 shown]
	v_fmac_f16_e32 v45, 0x34f2, v41
	v_fmac_f16_e32 v32, 0x34f2, v41
	v_fmamk_f16 v41, v42, 0x3b9c, v51
	v_sub_f16_e32 v36, v75, v36
	v_fmac_f16_e32 v9, -0.5, v43
	v_fmac_f16_e32 v51, 0xbb9c, v42
	v_add_f16_e32 v35, v39, v59
	v_add_f16_e32 v20, v34, v20
	;; [unrolled: 1-line block ×3, first 2 shown]
	v_lshrrev_b32_e32 v8, 16, v2
	v_add_f16_e32 v40, v40, v37
	v_fmac_f16_e32 v41, 0x38b4, v36
	v_add_f16_e32 v43, v49, v61
	v_fmamk_f16 v49, v36, 0xbb9c, v9
	v_fmac_f16_e32 v51, 0xb8b4, v36
	v_fma_f16 v35, -0.5, v35, v2
	v_sub_f16_e32 v37, v52, v24
	v_fmac_f16_e32 v9, 0x3b9c, v36
	v_add_f16_e32 v34, v34, v39
	v_add_f16_e32 v62, v38, v21
	v_fmac_f16_e32 v31, 0x34f2, v50
	v_fmac_f16_e32 v5, 0x34f2, v50
	v_fmac_f16_e32 v41, 0x34f2, v43
	v_fmac_f16_e32 v49, 0x38b4, v42
	v_fmac_f16_e32 v51, 0x34f2, v43
	v_fmamk_f16 v36, v37, 0xbb9c, v35
	v_sub_f16_e32 v43, v22, v54
	v_sub_f16_e32 v50, v38, v39
	;; [unrolled: 1-line block ×3, first 2 shown]
	v_fmac_f16_e32 v9, 0xb8b4, v42
	v_add_f16_e32 v34, v34, v59
	v_fma_f16 v2, -0.5, v62, v2
	v_fmac_f16_e32 v35, 0x3b9c, v37
	v_add_f16_e32 v62, v8, v52
	v_fmac_f16_e32 v49, 0x34f2, v20
	v_fmac_f16_e32 v36, 0xb8b4, v43
	v_add_f16_e32 v42, v50, v61
	v_fmac_f16_e32 v9, 0x34f2, v20
	v_add_f16_e32 v20, v34, v21
	v_fmamk_f16 v34, v43, 0x3b9c, v2
	v_sub_f16_e32 v50, v39, v38
	v_sub_f16_e32 v61, v59, v21
	v_fmac_f16_e32 v35, 0x38b4, v43
	v_add_f16_e32 v63, v22, v54
	v_fmac_f16_e32 v2, 0xbb9c, v43
	v_add_f16_e32 v43, v62, v22
	v_fmac_f16_e32 v36, 0x34f2, v42
	v_fmac_f16_e32 v34, 0xb8b4, v37
	v_add_f16_e32 v50, v50, v61
	v_fma_f16 v61, -0.5, v63, v8
	v_sub_f16_e32 v21, v38, v21
	v_fmac_f16_e32 v35, 0x34f2, v42
	v_fmac_f16_e32 v2, 0x38b4, v37
	v_add_f16_e32 v37, v43, v54
	v_add_f16_e32 v42, v52, v24
	v_fmamk_f16 v38, v21, 0x3b9c, v61
	v_sub_f16_e32 v39, v39, v59
	v_sub_f16_e32 v43, v52, v22
	;; [unrolled: 1-line block ×3, first 2 shown]
	v_fmac_f16_e32 v8, -0.5, v42
	v_add_f16_e32 v37, v37, v24
	v_fmac_f16_e32 v61, 0xbb9c, v21
	v_sub_f16_e32 v22, v22, v52
	v_sub_f16_e32 v24, v54, v24
	v_fmac_f16_e32 v34, 0x34f2, v50
	v_fmac_f16_e32 v2, 0x34f2, v50
	;; [unrolled: 1-line block ×3, first 2 shown]
	v_add_f16_e32 v42, v43, v59
	v_fmamk_f16 v43, v39, 0xbb9c, v8
	v_add_f16_e32 v50, v48, v55
	v_fmac_f16_e32 v61, 0xb8b4, v39
	v_add_f16_e32 v22, v22, v24
	v_add_f16_e32 v24, v3, v53
	v_fmac_f16_e32 v8, 0x3b9c, v39
	v_add_f16_e32 v62, v53, v60
	v_lshrrev_b32_e32 v7, 16, v3
	v_fmac_f16_e32 v38, 0x34f2, v42
	v_fmac_f16_e32 v43, 0x38b4, v21
	v_fma_f16 v50, -0.5, v50, v3
	v_sub_f16_e32 v52, v26, v25
	v_fmac_f16_e32 v61, 0x34f2, v42
	v_add_f16_e32 v24, v24, v48
	v_sub_f16_e32 v42, v23, v28
	v_sub_f16_e32 v54, v53, v48
	;; [unrolled: 1-line block ×3, first 2 shown]
	v_fmac_f16_e32 v8, 0xb8b4, v21
	v_fmac_f16_e32 v3, -0.5, v62
	v_fmac_f16_e32 v43, 0x34f2, v22
	v_fmamk_f16 v39, v52, 0xbb9c, v50
	v_add_f16_e32 v21, v24, v55
	v_add_f16_e32 v24, v54, v59
	v_fmac_f16_e32 v8, 0x34f2, v22
	v_fmac_f16_e32 v50, 0x3b9c, v52
	v_fmamk_f16 v22, v42, 0x3b9c, v3
	v_sub_f16_e32 v54, v48, v53
	v_sub_f16_e32 v59, v55, v60
	v_add_f16_e32 v62, v7, v26
	v_add_f16_e32 v63, v23, v28
	v_fmac_f16_e32 v3, 0xbb9c, v42
	v_fmac_f16_e32 v39, 0xb8b4, v42
	;; [unrolled: 1-line block ×4, first 2 shown]
	v_add_f16_e32 v54, v54, v59
	v_add_f16_e32 v42, v62, v23
	v_fma_f16 v59, -0.5, v63, v7
	v_sub_f16_e32 v53, v53, v60
	v_fmac_f16_e32 v3, 0x38b4, v52
	v_add_f16_e32 v52, v26, v25
	v_add_f16_e32 v21, v21, v60
	v_fmac_f16_e32 v39, 0x34f2, v24
	v_fmac_f16_e32 v50, 0x34f2, v24
	v_add_f16_e32 v24, v42, v28
	v_fmamk_f16 v42, v53, 0x3b9c, v59
	v_sub_f16_e32 v48, v48, v55
	v_sub_f16_e32 v55, v26, v23
	;; [unrolled: 1-line block ×3, first 2 shown]
	v_fmac_f16_e32 v7, -0.5, v52
	v_fmac_f16_e32 v59, 0xbb9c, v53
	v_sub_f16_e32 v23, v23, v26
	v_add_f16_e32 v26, v13, v17
	v_fmac_f16_e32 v22, 0x34f2, v54
	v_fmac_f16_e32 v3, 0x34f2, v54
	v_add_f16_e32 v24, v24, v25
	v_fmac_f16_e32 v42, 0x38b4, v48
	v_add_f16_e32 v52, v55, v60
	v_fmamk_f16 v54, v48, 0xbb9c, v7
	v_sub_f16_e32 v25, v28, v25
	v_fmac_f16_e32 v59, 0xb8b4, v48
	v_fmac_f16_e32 v7, 0x3b9c, v48
	v_fma_f16 v26, -0.5, v26, v0
	v_sub_f16_e32 v28, v11, v33
	v_fmac_f16_e32 v42, 0x34f2, v52
	v_fmac_f16_e32 v54, 0x38b4, v53
	v_add_f16_e32 v23, v23, v25
	v_add_f16_e32 v25, v0, v15
	v_fmac_f16_e32 v59, 0x34f2, v52
	v_fmac_f16_e32 v7, 0xb8b4, v53
	v_fmamk_f16 v48, v28, 0xbb9c, v26
	v_sub_f16_e32 v52, v12, v16
	v_sub_f16_e32 v53, v15, v13
	;; [unrolled: 1-line block ×3, first 2 shown]
	v_fmac_f16_e32 v26, 0x3b9c, v28
	v_lshrrev_b32_e32 v6, 16, v0
	v_add_f16_e32 v25, v25, v13
	v_add_f16_e32 v60, v15, v27
	v_fmac_f16_e32 v48, 0xb8b4, v52
	v_add_f16_e32 v53, v53, v55
	v_fmac_f16_e32 v26, 0x38b4, v52
	v_add_f16_e32 v25, v25, v17
	v_fmac_f16_e32 v0, -0.5, v60
	v_add_f16_e32 v55, v12, v16
	v_fmac_f16_e32 v48, 0x34f2, v53
	v_fmac_f16_e32 v26, 0x34f2, v53
	v_add_f16_e32 v53, v6, v11
	v_fmac_f16_e32 v54, 0x34f2, v23
	v_fmac_f16_e32 v7, 0x34f2, v23
	v_add_f16_e32 v23, v25, v27
	v_fmamk_f16 v25, v52, 0x3b9c, v0
	v_sub_f16_e32 v60, v13, v15
	v_sub_f16_e32 v62, v17, v27
	v_fmac_f16_e32 v0, 0xbb9c, v52
	v_add_f16_e32 v52, v53, v12
	v_fma_f16 v53, -0.5, v55, v6
	v_add_f16_e32 v55, v11, v33
	v_sub_f16_e32 v15, v15, v27
	v_fmac_f16_e32 v25, 0xb8b4, v28
	v_add_f16_e32 v27, v60, v62
	v_fmac_f16_e32 v0, 0x38b4, v28
	v_sub_f16_e32 v13, v13, v17
	v_fmac_f16_e32 v6, -0.5, v55
	v_add_f16_e32 v28, v52, v16
	v_fmac_f16_e32 v25, 0x34f2, v27
	v_fmac_f16_e32 v0, 0x34f2, v27
	v_sub_f16_e32 v27, v11, v12
	v_fmamk_f16 v55, v13, 0xbb9c, v6
	v_sub_f16_e32 v11, v12, v11
	v_sub_f16_e32 v12, v16, v33
	v_fmac_f16_e32 v6, 0x3b9c, v13
	v_fmamk_f16 v52, v15, 0x3b9c, v53
	v_add_f16_e32 v17, v28, v33
	v_sub_f16_e32 v28, v33, v16
	v_fmac_f16_e32 v53, 0xbb9c, v15
	v_fmac_f16_e32 v55, 0x38b4, v15
	v_add_f16_e32 v11, v11, v12
	v_fmac_f16_e32 v6, 0xb8b4, v15
	v_pack_b32_f16 v12, v19, v29
	v_fmac_f16_e32 v52, 0x38b4, v13
	v_add_f16_e32 v16, v27, v28
	v_fmac_f16_e32 v53, 0xb8b4, v13
	v_fmac_f16_e32 v55, 0x34f2, v11
	;; [unrolled: 1-line block ×3, first 2 shown]
	v_pack_b32_f16 v11, v14, v44
	v_pack_b32_f16 v4, v4, v10
	;; [unrolled: 1-line block ×3, first 2 shown]
	v_add_nc_u32_e32 v13, 0x400, v112
	ds_store_b32 v83, v12
	v_pack_b32_f16 v12, v18, v46
	v_pack_b32_f16 v14, v31, v49
	v_add_nc_u32_e32 v15, 0x800, v112
	v_pack_b32_f16 v5, v5, v9
	v_add_nc_u32_e32 v9, 0xe00, v112
	v_fmac_f16_e32 v52, 0x34f2, v16
	v_fmac_f16_e32 v53, 0x34f2, v16
	v_pack_b32_f16 v1, v1, v47
	v_pack_b32_f16 v16, v32, v51
	v_add_nc_u32_e32 v18, 0x1400, v112
	v_pack_b32_f16 v19, v30, v40
	ds_store_2addr_b32 v13, v11, v10 offset0:69 offset1:134
	ds_store_2addr_b32 v15, v12, v14 offset0:138 offset1:203
	;; [unrolled: 1-line block ×4, first 2 shown]
	v_pack_b32_f16 v1, v20, v37
	v_pack_b32_f16 v4, v36, v38
	;; [unrolled: 1-line block ×5, first 2 shown]
	ds_store_2addr_b32 v112, v19, v1 offset0:65 offset1:130
	ds_store_b32 v181, v4 offset:1300
	ds_store_b32 v181, v5 offset:2600
	;; [unrolled: 1-line block ×4, first 2 shown]
	v_pack_b32_f16 v1, v21, v24
	v_pack_b32_f16 v2, v39, v42
	;; [unrolled: 1-line block ×5, first 2 shown]
	ds_store_b32 v112, v1 offset:780
	ds_store_b32 v103, v2 offset:1300
	;; [unrolled: 1-line block ×5, first 2 shown]
	v_pack_b32_f16 v1, v23, v17
	v_pack_b32_f16 v2, v48, v52
	v_pack_b32_f16 v3, v25, v55
	v_pack_b32_f16 v0, v0, v6
	v_pack_b32_f16 v4, v26, v53
	ds_store_b32 v112, v1 offset:1040
	ds_store_b32 v180, v2 offset:1300
	;; [unrolled: 1-line block ×5, first 2 shown]
	global_wb scope:SCOPE_SE
	s_wait_dscnt 0x0
	s_barrier_signal -1
	s_barrier_wait -1
	global_inv scope:SCOPE_SE
	ds_load_2addr_b32 v[0:1], v83 offset1:125
	v_lshrrev_b32_e32 v5, 16, v108
	v_lshrrev_b32_e32 v11, 16, v106
	scratch_load_b32 v28, off, off offset:12 th:TH_LOAD_LU ; 4-byte Folded Reload
	s_wait_dscnt 0x0
	v_lshrrev_b32_e32 v4, 16, v0
	s_delay_alu instid0(VALU_DEP_1) | instskip(NEXT) | instid1(VALU_DEP_1)
	v_mul_f16_e32 v2, v5, v4
	v_fmac_f16_e32 v2, v108, v0
	v_mul_f16_e32 v0, v5, v0
	s_delay_alu instid0(VALU_DEP_2) | instskip(NEXT) | instid1(VALU_DEP_2)
	v_cvt_f32_f16_e32 v2, v2
	v_fma_f16 v0, v108, v4, -v0
	s_delay_alu instid0(VALU_DEP_2) | instskip(NEXT) | instid1(VALU_DEP_2)
	v_cvt_f64_f32_e32 v[2:3], v2
	v_cvt_f32_f16_e32 v0, v0
	s_delay_alu instid0(VALU_DEP_1) | instskip(SKIP_1) | instid1(VALU_DEP_1)
	v_cvt_f64_f32_e32 v[4:5], v0
	v_lshrrev_b32_e32 v0, 16, v1
	v_mul_f16_e32 v6, v11, v0
	s_delay_alu instid0(VALU_DEP_1) | instskip(SKIP_1) | instid1(VALU_DEP_2)
	v_fmac_f16_e32 v6, v106, v1
	v_mul_f16_e32 v1, v11, v1
	v_cvt_f32_f16_e32 v6, v6
	s_delay_alu instid0(VALU_DEP_2) | instskip(NEXT) | instid1(VALU_DEP_1)
	v_fma_f16 v0, v106, v0, -v1
	v_cvt_f32_f16_e32 v0, v0
	s_wait_alu 0xfffe
	v_mul_f64_e32 v[2:3], s[8:9], v[2:3]
	v_mul_f64_e32 v[4:5], s[8:9], v[4:5]
	s_delay_alu instid0(VALU_DEP_2) | instskip(SKIP_2) | instid1(VALU_DEP_3)
	v_and_or_b32 v2, 0x1ff, v3, v2
	v_lshrrev_b32_e32 v7, 8, v3
	v_bfe_u32 v8, v3, 20, 11
	v_cmp_ne_u32_e64 s0, 0, v2
	v_and_or_b32 v4, 0x1ff, v5, v4
	s_delay_alu instid0(VALU_DEP_3) | instskip(SKIP_3) | instid1(VALU_DEP_1)
	v_add_nc_u32_e32 v15, 0xfffffc10, v8
	v_bfe_u32 v12, v5, 20, 11
	s_wait_alu 0xf1ff
	v_cndmask_b32_e64 v2, 0, 1, s0
	v_and_or_b32 v14, 0xffe, v7, v2
	v_sub_nc_u32_e32 v2, 0x3f1, v8
	v_cvt_f64_f32_e32 v[6:7], v6
	s_delay_alu instid0(VALU_DEP_3) | instskip(NEXT) | instid1(VALU_DEP_3)
	v_or_b32_e32 v9, 0x1000, v14
	v_med3_i32 v2, v2, 0, 13
	v_lshl_or_b32 v8, v15, 12, v14
	s_delay_alu instid0(VALU_DEP_2) | instskip(NEXT) | instid1(VALU_DEP_1)
	v_lshrrev_b32_e32 v10, v2, v9
	v_lshlrev_b32_e32 v2, v2, v10
	s_delay_alu instid0(VALU_DEP_1) | instskip(SKIP_1) | instid1(VALU_DEP_1)
	v_cmp_ne_u32_e64 s0, v2, v9
	s_wait_alu 0xf1ff
	v_cndmask_b32_e64 v2, 0, 1, s0
	v_cmp_ne_u32_e64 s0, 0, v4
	v_lshrrev_b32_e32 v4, 8, v5
	s_delay_alu instid0(VALU_DEP_3) | instskip(SKIP_1) | instid1(VALU_DEP_3)
	v_or_b32_e32 v2, v10, v2
	s_wait_alu 0xf1ff
	v_cndmask_b32_e64 v1, 0, 1, s0
	v_cmp_gt_i32_e64 s0, 1, v15
	s_delay_alu instid0(VALU_DEP_2) | instskip(SKIP_1) | instid1(VALU_DEP_2)
	v_and_or_b32 v16, 0xffe, v4, v1
	s_wait_alu 0xf1ff
	v_cndmask_b32_e64 v17, v8, v2, s0
	scratch_load_b64 v[8:9], off, off th:TH_LOAD_LU ; 8-byte Folded Reload
	v_cvt_f64_f32_e32 v[0:1], v0
	v_sub_nc_u32_e32 v4, 0x3f1, v12
	v_or_b32_e32 v13, 0x1000, v16
	v_and_b32_e32 v10, 7, v17
	v_mul_f64_e32 v[6:7], s[8:9], v[6:7]
	v_add_nc_u32_e32 v2, 0x200, v83
	v_med3_i32 v4, v4, 0, 13
	s_delay_alu instid0(VALU_DEP_4) | instskip(SKIP_4) | instid1(VALU_DEP_1)
	v_cmp_lt_i32_e64 s0, 5, v10
	v_cmp_eq_u32_e64 s1, 3, v10
	ds_load_2addr_b32 v[10:11], v2 offset0:122 offset1:247
	v_lshrrev_b32_e32 v18, v4, v13
	s_or_b32 s0, s1, s0
	v_lshlrev_b32_e32 v19, v4, v18
	s_delay_alu instid0(VALU_DEP_1) | instskip(SKIP_4) | instid1(VALU_DEP_3)
	v_cmp_ne_u32_e64 s2, v19, v13
	v_add_nc_u32_e32 v19, 0xfffffc10, v12
	v_mul_f64_e32 v[0:1], s[8:9], v[0:1]
	v_and_or_b32 v6, 0x1ff, v7, v6
	v_bfe_u32 v21, v7, 20, 11
	v_and_or_b32 v0, 0x1ff, v1, v0
	s_wait_loadcnt 0x0
	v_mov_b32_e32 v20, v8
	s_delay_alu instid0(VALU_DEP_1) | instskip(NEXT) | instid1(VALU_DEP_1)
	v_mad_co_u64_u32 v[8:9], null, s6, v20, 0
	v_mov_b32_e32 v4, v9
	s_wait_alu 0xf1ff
	v_cndmask_b32_e64 v9, 0, 1, s2
	s_delay_alu instid0(VALU_DEP_2) | instskip(SKIP_1) | instid1(VALU_DEP_3)
	v_mad_co_u64_u32 v[12:13], null, s7, v20, v[4:5]
	v_lshrrev_b32_e32 v4, 2, v17
	v_or_b32_e32 v9, v18, v9
	v_lshl_or_b32 v13, v19, 12, v16
	s_wait_dscnt 0x0
	v_lshrrev_b32_e32 v17, 16, v10
	v_lshrrev_b32_e32 v20, 8, v7
	s_wait_alu 0xfffe
	v_add_co_ci_u32_e64 v4, s0, 0, v4, s0
	v_cmp_ne_u32_e64 s0, 0, v14
	s_wait_alu 0xf1ff
	s_delay_alu instid0(VALU_DEP_1) | instskip(SKIP_1) | instid1(VALU_DEP_2)
	v_cndmask_b32_e64 v14, 0, 1, s0
	v_cmp_gt_i32_e64 s0, 1, v19
	v_lshl_or_b32 v14, v14, 9, 0x7c00
	s_wait_alu 0xf1ff
	s_delay_alu instid0(VALU_DEP_2) | instskip(SKIP_1) | instid1(VALU_DEP_2)
	v_cndmask_b32_e64 v13, v13, v9, s0
	v_cmp_gt_i32_e64 s0, 31, v15
	v_dual_mov_b32 v9, v12 :: v_dual_and_b32 v18, 7, v13
	s_wait_alu 0xf1ff
	s_delay_alu instid0(VALU_DEP_2)
	v_cndmask_b32_e64 v4, 0x7c00, v4, s0
	v_cmp_eq_u32_e64 s0, 0x40f, v15
	v_lshrrev_b32_e32 v15, 16, v3
	v_lshrrev_b32_e32 v3, 2, v13
	v_cmp_eq_u32_e64 s1, 3, v18
	v_mad_co_u64_u32 v[12:13], null, s4, v252, 0
	s_wait_alu 0xf1ff
	v_cndmask_b32_e64 v14, v4, v14, s0
	v_mul_f16_e64 v4, v255, v17
	v_cmp_lt_i32_e64 s0, 5, v18
	v_lshlrev_b64_e32 v[8:9], 2, v[8:9]
	s_delay_alu instid0(VALU_DEP_4) | instskip(NEXT) | instid1(VALU_DEP_4)
	v_and_or_b32 v24, 0x8000, v15, v14
	v_fmac_f16_e32 v4, v104, v10
	s_delay_alu instid0(VALU_DEP_4)
	s_or_b32 s0, s1, s0
	v_mul_f16_e64 v10, v255, v10
	s_wait_alu 0xfffe
	v_add_co_ci_u32_e64 v18, s0, 0, v3, s0
	v_cvt_f32_f16_e32 v3, v4
	v_cmp_ne_u32_e64 s0, 0, v6
	v_lshrrev_b32_e32 v14, 8, v1
	v_fma_f16 v10, v104, v17, -v10
	v_add_nc_u32_e32 v17, 0xfffffc10, v21
	v_cvt_f64_f32_e32 v[3:4], v3
	s_wait_alu 0xf1ff
	v_cndmask_b32_e64 v6, 0, 1, s0
	v_cmp_ne_u32_e64 s0, 0, v16
	v_cvt_f32_f16_e32 v10, v10
	s_delay_alu instid0(VALU_DEP_3) | instskip(SKIP_1) | instid1(VALU_DEP_3)
	v_and_or_b32 v20, 0xffe, v20, v6
	s_wait_alu 0xf1ff
	v_cndmask_b32_e64 v16, 0, 1, s0
	v_sub_nc_u32_e32 v6, 0x3f1, v21
	v_cmp_gt_i32_e64 s0, 31, v19
	v_or_b32_e32 v22, 0x1000, v20
	s_delay_alu instid0(VALU_DEP_4) | instskip(NEXT) | instid1(VALU_DEP_4)
	v_lshl_or_b32 v16, v16, 9, 0x7c00
	v_med3_i32 v23, v6, 0, 13
	s_wait_alu 0xf1ff
	v_cndmask_b32_e64 v18, 0x7c00, v18, s0
	v_cmp_eq_u32_e64 s0, 0x40f, v19
	v_mov_b32_e32 v6, v13
	v_bfe_u32 v19, v1, 20, 11
	v_lshrrev_b32_e32 v13, v23, v22
	s_wait_alu 0xf1ff
	v_cndmask_b32_e64 v16, v18, v16, s0
	v_cmp_ne_u32_e64 s0, 0, v0
	v_lshrrev_b32_e32 v18, 16, v5
	v_mad_co_u64_u32 v[5:6], null, s5, v252, v[6:7]
	v_lshlrev_b32_e32 v6, v23, v13
	s_wait_alu 0xf1ff
	v_cndmask_b32_e64 v0, 0, 1, s0
	v_sub_nc_u32_e32 v21, 0x3f1, v19
	v_and_or_b32 v16, 0x8000, v18, v16
	v_and_b32_e32 v18, 0xffff, v24
	v_cmp_ne_u32_e64 s0, v6, v22
	v_and_or_b32 v0, 0xffe, v14, v0
	v_cvt_f64_f32_e32 v[14:15], v10
	v_med3_i32 v10, v21, 0, 13
	v_lshl_or_b32 v16, v16, 16, v18
	s_wait_alu 0xf1ff
	v_cndmask_b32_e64 v6, 0, 1, s0
	v_or_b32_e32 v22, 0x1000, v0
	v_cmp_gt_i32_e64 s0, 1, v17
	v_mul_f64_e32 v[3:4], s[8:9], v[3:4]
	v_add_nc_u32_e32 v19, 0xfffffc10, v19
	v_or_b32_e32 v6, v13, v6
	v_lshl_or_b32 v13, v17, 12, v20
	v_lshrrev_b32_e32 v23, v10, v22
	v_lshrrev_b32_e32 v7, 16, v7
	s_wait_alu 0xf1ff
	s_delay_alu instid0(VALU_DEP_3) | instskip(NEXT) | instid1(VALU_DEP_3)
	v_cndmask_b32_e64 v21, v13, v6, s0
	v_dual_mov_b32 v13, v5 :: v_dual_lshlrev_b32 v6, v10, v23
	v_add_co_u32 v10, s0, s10, v8
	s_delay_alu instid0(VALU_DEP_3) | instskip(NEXT) | instid1(VALU_DEP_3)
	v_and_b32_e32 v5, 7, v21
	v_cmp_ne_u32_e64 s1, v6, v22
	s_wait_alu 0xf1ff
	v_add_co_ci_u32_e64 v18, s0, s11, v9, s0
	v_lshrrev_b32_e32 v9, 2, v21
	v_cmp_lt_i32_e64 s0, 5, v5
	v_cndmask_b32_e64 v8, 0, 1, s1
	v_cmp_eq_u32_e64 s1, 3, v5
	v_lshlrev_b64_e32 v[5:6], 2, v[12:13]
	v_lshl_or_b32 v12, v19, 12, v0
	s_delay_alu instid0(VALU_DEP_4) | instskip(NEXT) | instid1(VALU_DEP_4)
	v_or_b32_e32 v8, v23, v8
	s_or_b32 s0, s1, s0
	s_wait_alu 0xfffe
	v_add_co_ci_u32_e64 v9, s0, 0, v9, s0
	v_cmp_ne_u32_e64 s0, 0, v20
	v_lshrrev_b32_e32 v20, 16, v11
	s_wait_alu 0xf1ff
	s_delay_alu instid0(VALU_DEP_2) | instskip(SKIP_2) | instid1(VALU_DEP_3)
	v_cndmask_b32_e64 v13, 0, 1, s0
	v_cmp_gt_i32_e64 s0, 1, v19
	v_and_or_b32 v3, 0x1ff, v4, v3
	v_lshl_or_b32 v13, v13, 9, 0x7c00
	s_wait_alu 0xf1ff
	s_delay_alu instid0(VALU_DEP_3) | instskip(SKIP_2) | instid1(VALU_DEP_3)
	v_cndmask_b32_e64 v12, v12, v8, s0
	v_cmp_gt_i32_e64 s0, 31, v17
	v_cmp_ne_u32_e64 s1, 0, v3
	v_and_b32_e32 v22, 7, v12
	s_wait_alu 0xf1ff
	s_delay_alu instid0(VALU_DEP_3)
	v_cndmask_b32_e64 v21, 0x7c00, v9, s0
	v_mul_f64_e32 v[8:9], s[8:9], v[14:15]
	v_mul_f16_e64 v14, v254, v20
	v_cmp_eq_u32_e64 s0, 0x40f, v17
	v_cndmask_b32_e64 v3, 0, 1, s1
	v_cmp_eq_u32_e64 s1, 3, v22
	v_bfe_u32 v17, v4, 20, 11
	v_fmac_f16_e32 v14, v101, v11
	s_wait_alu 0xf1ff
	v_cndmask_b32_e64 v15, v21, v13, s0
	v_cmp_lt_i32_e64 s0, 5, v22
	v_lshrrev_b32_e32 v13, 8, v4
	v_lshrrev_b32_e32 v21, 2, v12
	v_cvt_f32_f16_e32 v14, v14
	v_and_or_b32 v15, 0x8000, v7, v15
	s_or_b32 s0, s1, s0
	v_and_or_b32 v22, 0xffe, v13, v3
	v_sub_nc_u32_e32 v3, 0x3f1, v17
	v_cvt_f64_f32_e32 v[12:13], v14
	s_wait_alu 0xfffe
	v_add_co_ci_u32_e64 v14, s0, 0, v21, s0
	v_cmp_ne_u32_e64 s0, 0, v0
	v_or_b32_e32 v21, 0x1000, v22
	v_med3_i32 v3, v3, 0, 13
	v_add_nc_u32_e32 v17, 0xfffffc10, v17
	v_and_b32_e32 v15, 0xffff, v15
	s_wait_alu 0xf1ff
	v_cndmask_b32_e64 v0, 0, 1, s0
	v_cmp_gt_i32_e64 s0, 31, v19
	v_lshrrev_b32_e32 v23, v3, v21
	v_lshrrev_b32_e32 v4, 16, v4
	s_delay_alu instid0(VALU_DEP_4)
	v_lshl_or_b32 v0, v0, 9, 0x7c00
	s_wait_alu 0xf1ff
	v_cndmask_b32_e64 v14, 0x7c00, v14, s0
	v_add_co_u32 v5, s0, v10, v5
	s_wait_alu 0xf1ff
	v_add_co_ci_u32_e64 v6, s0, v18, v6, s0
	v_lshlrev_b32_e32 v3, v3, v23
	v_cmp_eq_u32_e64 s0, 0x40f, v19
	v_lshrrev_b32_e32 v18, 16, v1
	v_and_or_b32 v7, 0x1ff, v9, v8
	v_bfe_u32 v19, v9, 20, 11
	s_wait_alu 0xf1ff
	v_cndmask_b32_e64 v14, v14, v0, s0
	v_cmp_ne_u32_e64 s0, v3, v21
	v_mul_f16_e64 v0, v254, v11
	v_sub_nc_u32_e32 v10, 0x3f1, v19
	v_add_nc_u32_e32 v19, 0xfffffc10, v19
	v_and_or_b32 v14, 0x8000, v18, v14
	s_wait_alu 0xf1ff
	v_cndmask_b32_e64 v1, 0, 1, s0
	v_cmp_ne_u32_e64 s0, 0, v7
	v_lshrrev_b32_e32 v7, 8, v9
	v_fma_f16 v0, v101, v20, -v0
	v_lshl_or_b32 v24, v14, 16, v15
	v_or_b32_e32 v20, v23, v1
	s_wait_alu 0xf1ff
	v_cndmask_b32_e64 v3, 0, 1, s0
	v_cmp_gt_i32_e64 s0, 1, v17
	v_cvt_f32_f16_e32 v0, v0
	s_delay_alu instid0(VALU_DEP_3)
	v_and_or_b32 v21, 0xffe, v7, v3
	v_mul_f64_e32 v[7:8], s[8:9], v[12:13]
	v_lshl_or_b32 v12, v17, 12, v22
	v_med3_i32 v13, v10, 0, 13
	v_add_nc_u32_e32 v3, 0x600, v83
	v_or_b32_e32 v23, 0x1000, v21
	v_cvt_f64_f32_e32 v[0:1], v0
	s_wait_alu 0xf1ff
	v_cndmask_b32_e64 v18, v12, v20, s0
	s_mul_u64 s[0:1], s[4:5], 0x7d
	ds_load_2addr_b32 v[10:11], v3 offset0:116 offset1:241
	v_lshrrev_b32_e32 v20, v13, v23
	s_wait_alu 0xfffe
	s_lshl_b64 s[6:7], s[0:1], 2
	v_and_b32_e32 v14, 7, v18
	s_wait_alu 0xfffe
	v_add_co_u32 v12, s0, v5, s6
	v_lshlrev_b32_e32 v15, v13, v20
	s_wait_alu 0xf1ff
	v_add_co_ci_u32_e64 v13, s0, s7, v6, s0
	s_clause 0x1
	global_store_b32 v[5:6], v16, off
	global_store_b32 v[12:13], v24, off
	scratch_load_b32 v24, off, off offset:8 th:TH_LOAD_LU ; 4-byte Folded Reload
	v_cmp_lt_i32_e64 s0, 5, v14
	v_cmp_eq_u32_e64 s1, 3, v14
	v_lshrrev_b32_e32 v14, 2, v18
	v_cmp_ne_u32_e64 s2, v15, v23
	s_delay_alu instid0(VALU_DEP_3)
	s_or_b32 s0, s1, s0
	s_wait_dscnt 0x0
	v_lshrrev_b32_e32 v18, 16, v10
	s_wait_alu 0xfffe
	v_add_co_ci_u32_e64 v14, s0, 0, v14, s0
	v_cndmask_b32_e64 v15, 0, 1, s2
	v_cmp_ne_u32_e64 s0, 0, v22
	v_mul_f16_e32 v23, v28, v18
	s_delay_alu instid0(VALU_DEP_3)
	v_or_b32_e32 v15, v20, v15
	v_lshl_or_b32 v20, v19, 12, v21
	s_wait_alu 0xf1ff
	v_cndmask_b32_e64 v22, 0, 1, s0
	v_cmp_gt_i32_e64 s0, 1, v19
	v_fmac_f16_e32 v23, v99, v10
	v_and_or_b32 v7, 0x1ff, v8, v7
	v_lshrrev_b32_e32 v26, 8, v8
	v_mul_f64_e32 v[0:1], s[8:9], v[0:1]
	s_wait_alu 0xf1ff
	v_cndmask_b32_e64 v20, v20, v15, s0
	v_cmp_gt_i32_e64 s0, 31, v17
	v_cvt_f32_f16_e32 v15, v23
	v_lshl_or_b32 v22, v22, 9, 0x7c00
	v_bfe_u32 v27, v8, 20, 11
	v_and_b32_e32 v25, 7, v20
	s_wait_alu 0xf1ff
	v_cndmask_b32_e64 v23, 0x7c00, v14, s0
	v_cmp_ne_u32_e64 s0, 0, v7
	v_cvt_f64_f32_e32 v[14:15], v15
	v_lshrrev_b32_e32 v20, 2, v20
	v_cmp_eq_u32_e64 s1, 3, v25
	v_mul_f16_e32 v10, v28, v10
	s_wait_alu 0xf1ff
	v_cndmask_b32_e64 v7, 0, 1, s0
	v_cmp_eq_u32_e64 s0, 0x40f, v17
	s_delay_alu instid0(VALU_DEP_3) | instskip(NEXT) | instid1(VALU_DEP_3)
	v_fma_f16 v10, v99, v18, -v10
	v_and_or_b32 v7, 0xffe, v26, v7
	s_wait_alu 0xf1ff
	s_delay_alu instid0(VALU_DEP_3) | instskip(SKIP_3) | instid1(VALU_DEP_4)
	v_cndmask_b32_e64 v17, v23, v22, s0
	v_cmp_lt_i32_e64 s0, 5, v25
	v_sub_nc_u32_e32 v22, 0x3f1, v27
	v_or_b32_e32 v23, 0x1000, v7
	v_and_or_b32 v4, 0x8000, v4, v17
	s_delay_alu instid0(VALU_DEP_4) | instskip(NEXT) | instid1(VALU_DEP_3)
	s_or_b32 s0, s1, s0
	v_med3_i32 v22, v22, 0, 13
	s_wait_alu 0xfffe
	v_add_co_ci_u32_e64 v20, s0, 0, v20, s0
	v_cmp_ne_u32_e64 s0, 0, v21
	v_and_b32_e32 v4, 0xffff, v4
	v_lshrrev_b32_e32 v25, v22, v23
	s_wait_alu 0xf1ff
	s_delay_alu instid0(VALU_DEP_3) | instskip(SKIP_1) | instid1(VALU_DEP_3)
	v_cndmask_b32_e64 v21, 0, 1, s0
	v_cmp_gt_i32_e64 s0, 31, v19
	v_lshlrev_b32_e32 v17, v22, v25
	v_and_or_b32 v0, 0x1ff, v1, v0
	s_delay_alu instid0(VALU_DEP_4)
	v_lshl_or_b32 v21, v21, 9, 0x7c00
	s_wait_alu 0xf1ff
	v_cndmask_b32_e64 v20, 0x7c00, v20, s0
	v_cmp_eq_u32_e64 s0, 0x40f, v19
	v_lshrrev_b32_e32 v19, 16, v9
	v_cvt_f32_f16_e32 v9, v10
	v_bfe_u32 v22, v1, 20, 11
	s_wait_alu 0xf1ff
	v_cndmask_b32_e64 v18, v20, v21, s0
	v_cmp_ne_u32_e64 s0, v17, v23
	v_cvt_f64_f32_e32 v[9:10], v9
	v_mul_f64_e32 v[14:15], s[8:9], v[14:15]
	v_add_nc_u32_e32 v20, 0xfffffc10, v27
	v_lshrrev_b32_e32 v21, 8, v1
	s_wait_alu 0xf1ff
	v_cndmask_b32_e64 v17, 0, 1, s0
	v_cmp_ne_u32_e64 s0, 0, v0
	v_and_or_b32 v18, 0x8000, v19, v18
	v_lshl_or_b32 v19, v20, 12, v7
	v_lshrrev_b32_e32 v1, 16, v1
	v_or_b32_e32 v17, v25, v17
	s_wait_alu 0xf1ff
	v_cndmask_b32_e64 v0, 0, 1, s0
	v_cmp_gt_i32_e64 s0, 1, v20
	v_lshl_or_b32 v16, v18, 16, v4
	s_delay_alu instid0(VALU_DEP_3)
	v_and_or_b32 v0, 0xffe, v21, v0
	v_sub_nc_u32_e32 v21, 0x3f1, v22
	s_wait_alu 0xf1ff
	v_cndmask_b32_e64 v17, v19, v17, s0
	v_add_co_u32 v5, s0, v12, s6
	v_or_b32_e32 v19, 0x1000, v0
	v_med3_i32 v21, v21, 0, 13
	s_delay_alu instid0(VALU_DEP_4)
	v_and_b32_e32 v4, 7, v17
	s_wait_alu 0xf1ff
	v_add_co_ci_u32_e64 v6, s0, s7, v13, s0
	v_lshrrev_b32_e32 v13, 2, v17
	v_lshrrev_b32_e32 v18, v21, v19
	v_cmp_lt_i32_e64 s0, 5, v4
	v_cmp_eq_u32_e64 s1, 3, v4
	v_lshrrev_b32_e32 v4, 16, v11
	v_add_nc_u32_e32 v17, 0xfffffc10, v22
	v_lshlrev_b32_e32 v12, v21, v18
	global_store_b32 v[5:6], v16, off
	s_or_b32 s0, s1, s0
	s_wait_alu 0xfffe
	v_add_co_ci_u32_e64 v21, s0, 0, v13, s0
	v_cmp_ne_u32_e64 s2, v12, v19
	v_cmp_ne_u32_e64 s0, 0, v7
	v_mul_f64_e32 v[9:10], s[8:9], v[9:10]
	v_lshl_or_b32 v13, v17, 12, v0
	v_and_or_b32 v14, 0x1ff, v15, v14
	s_wait_alu 0xf1ff
	v_cndmask_b32_e64 v12, 0, 1, s2
	v_cndmask_b32_e64 v7, 0, 1, s0
	v_cmp_gt_i32_e64 s0, 1, v17
	v_bfe_u32 v22, v15, 20, 11
	v_cmp_eq_u32_e64 s2, 0x40f, v20
	v_or_b32_e32 v12, v18, v12
	v_lshl_or_b32 v7, v7, 9, 0x7c00
	v_bfe_u32 v25, v10, 20, 11
	s_wait_loadcnt 0x0
	v_mul_f16_e32 v19, v24, v4
	s_delay_alu instid0(VALU_DEP_1) | instskip(NEXT) | instid1(VALU_DEP_1)
	v_fmac_f16_e32 v19, v97, v11
	v_cvt_f32_f16_e32 v18, v19
	s_wait_alu 0xf1ff
	v_cndmask_b32_e64 v19, v13, v12, s0
	v_cmp_ne_u32_e64 s0, 0, v14
	s_delay_alu instid0(VALU_DEP_3) | instskip(SKIP_2) | instid1(VALU_DEP_3)
	v_cvt_f64_f32_e32 v[12:13], v18
	v_lshrrev_b32_e32 v18, 8, v15
	s_wait_alu 0xf1ff
	v_cndmask_b32_e64 v14, 0, 1, s0
	v_cmp_gt_i32_e64 s0, 31, v20
	v_and_b32_e32 v23, 7, v19
	v_lshrrev_b32_e32 v15, 16, v15
	s_delay_alu instid0(VALU_DEP_4)
	v_and_or_b32 v18, 0xffe, v18, v14
	s_wait_alu 0xf1ff
	v_cndmask_b32_e64 v21, 0x7c00, v21, s0
	v_sub_nc_u32_e32 v14, 0x3f1, v22
	v_cmp_lt_i32_e64 s0, 5, v23
	v_cmp_eq_u32_e64 s1, 3, v23
	v_or_b32_e32 v23, 0x1000, v18
	v_cndmask_b32_e64 v20, v21, v7, s2
	v_lshrrev_b32_e32 v7, 2, v19
	v_med3_i32 v14, v14, 0, 13
	s_or_b32 s0, s1, s0
	v_lshrrev_b32_e32 v19, 16, v8
	v_mul_f16_e32 v8, v24, v11
	s_wait_alu 0xfffe
	v_add_co_ci_u32_e64 v7, s0, 0, v7, s0
	v_lshrrev_b32_e32 v21, v14, v23
	v_cmp_ne_u32_e64 s0, 0, v0
	v_fma_f16 v4, v97, v4, -v8
	v_lshrrev_b32_e32 v24, 8, v10
	v_add_nc_u32_e32 v22, 0xfffffc10, v22
	v_lshlrev_b32_e32 v11, v14, v21
	s_wait_alu 0xf1ff
	v_cndmask_b32_e64 v0, 0, 1, s0
	v_cmp_gt_i32_e64 s0, 31, v17
	v_cvt_f32_f16_e32 v4, v4
	v_and_or_b32 v19, 0x8000, v19, v20
	s_delay_alu instid0(VALU_DEP_4)
	v_lshl_or_b32 v0, v0, 9, 0x7c00
	s_wait_alu 0xf1ff
	v_cndmask_b32_e64 v14, 0x7c00, v7, s0
	v_and_or_b32 v7, 0x1ff, v10, v9
	v_cmp_ne_u32_e64 s0, v11, v23
	v_and_b32_e32 v19, 0xffff, v19
	s_wait_alu 0xf1ff
	s_delay_alu instid0(VALU_DEP_2)
	v_cndmask_b32_e64 v9, 0, 1, s0
	v_cmp_ne_u32_e64 s0, 0, v7
	v_mul_f64_e32 v[7:8], s[8:9], v[12:13]
	v_cvt_f64_f32_e32 v[11:12], v4
	v_sub_nc_u32_e32 v13, 0x3f1, v25
	v_or_b32_e32 v9, v21, v9
	s_wait_alu 0xf1ff
	v_cndmask_b32_e64 v23, 0, 1, s0
	v_cmp_eq_u32_e64 s0, 0x40f, v17
	v_add_nc_u32_e32 v4, 0xa00, v83
	s_delay_alu instid0(VALU_DEP_3) | instskip(SKIP_1) | instid1(VALU_DEP_3)
	v_and_or_b32 v17, 0xffe, v24, v23
	s_wait_alu 0xf1ff
	v_cndmask_b32_e64 v0, v14, v0, s0
	v_lshl_or_b32 v14, v22, 12, v18
	v_cmp_gt_i32_e64 s0, 1, v22
	v_med3_i32 v23, v13, 0, 13
	v_or_b32_e32 v21, 0x1000, v17
	v_and_or_b32 v16, 0x8000, v1, v0
	s_wait_alu 0xf1ff
	v_cndmask_b32_e64 v9, v14, v9, s0
	ds_load_2addr_b32 v[13:14], v4 offset0:110 offset1:235
	v_lshrrev_b32_e32 v24, v23, v21
	v_lshl_or_b32 v19, v16, 16, v19
	v_and_b32_e32 v20, 7, v9
	v_lshrrev_b32_e32 v1, 2, v9
	s_delay_alu instid0(VALU_DEP_4) | instskip(SKIP_1) | instid1(VALU_DEP_4)
	v_lshlrev_b32_e32 v0, v23, v24
	v_add_nc_u32_e32 v9, 0xfffffc10, v25
	v_cmp_lt_i32_e64 s0, 5, v20
	v_cmp_eq_u32_e64 s1, 3, v20
	s_delay_alu instid0(VALU_DEP_4) | instskip(NEXT) | instid1(VALU_DEP_2)
	v_cmp_ne_u32_e64 s2, v0, v21
	s_or_b32 s0, s1, s0
	s_delay_alu instid0(VALU_DEP_1)
	v_cndmask_b32_e64 v0, 0, 1, s2
	s_wait_alu 0xfffe
	v_add_co_ci_u32_e64 v20, s0, 0, v1, s0
	v_cmp_ne_u32_e64 s0, 0, v18
	v_lshl_or_b32 v1, v9, 12, v17
	v_or_b32_e32 v0, v24, v0
	s_wait_dscnt 0x0
	v_lshrrev_b32_e32 v21, 16, v13
	v_and_or_b32 v7, 0x1ff, v8, v7
	s_wait_alu 0xf1ff
	v_cndmask_b32_e64 v18, 0, 1, s0
	v_cmp_gt_i32_e64 s0, 1, v9
	v_cmp_eq_u32_e64 s2, 0x40f, v22
	v_mul_f16_e64 v24, v251, v21
	v_bfe_u32 v25, v8, 20, 11
	v_lshl_or_b32 v18, v18, 9, 0x7c00
	s_wait_alu 0xf1ff
	v_cndmask_b32_e64 v23, v1, v0, s0
	v_mul_f64_e32 v[0:1], s[8:9], v[11:12]
	v_cmp_gt_i32_e64 s0, 31, v22
	v_fmac_f16_e32 v24, v95, v13
	s_delay_alu instid0(VALU_DEP_4) | instskip(SKIP_1) | instid1(VALU_DEP_3)
	v_and_b32_e32 v11, 7, v23
	s_wait_alu 0xf1ff
	v_cndmask_b32_e64 v20, 0x7c00, v20, s0
	v_cmp_ne_u32_e64 s0, 0, v7
	v_cvt_f32_f16_e32 v12, v24
	v_lshrrev_b32_e32 v24, 8, v8
	v_cmp_eq_u32_e64 s1, 3, v11
	v_cndmask_b32_e64 v18, v20, v18, s2
	s_wait_alu 0xf1ff
	v_cndmask_b32_e64 v7, 0, 1, s0
	v_cmp_lt_i32_e64 s0, 5, v11
	v_cvt_f64_f32_e32 v[11:12], v12
	v_lshrrev_b32_e32 v20, 2, v23
	v_and_or_b32 v15, 0x8000, v15, v18
	v_and_or_b32 v24, 0xffe, v24, v7
	v_sub_nc_u32_e32 v7, 0x3f1, v25
	s_or_b32 s0, s1, s0
	v_lshrrev_b32_e32 v8, 16, v8
	s_wait_alu 0xfffe
	v_add_co_ci_u32_e64 v20, s0, 0, v20, s0
	v_or_b32_e32 v22, 0x1000, v24
	v_med3_i32 v7, v7, 0, 13
	v_cmp_ne_u32_e64 s0, 0, v17
	s_delay_alu instid0(VALU_DEP_2) | instskip(SKIP_1) | instid1(VALU_DEP_2)
	v_lshrrev_b32_e32 v23, v7, v22
	s_wait_alu 0xf1ff
	v_cndmask_b32_e64 v17, 0, 1, s0
	v_cmp_gt_i32_e64 s0, 31, v9
	s_delay_alu instid0(VALU_DEP_3) | instskip(NEXT) | instid1(VALU_DEP_3)
	v_lshlrev_b32_e32 v7, v7, v23
	v_lshl_or_b32 v17, v17, 9, 0x7c00
	s_wait_alu 0xf1ff
	s_delay_alu instid0(VALU_DEP_3)
	v_cndmask_b32_e64 v20, 0x7c00, v20, s0
	v_cmp_eq_u32_e64 s0, 0x40f, v9
	v_mul_f16_e64 v9, v251, v13
	v_and_or_b32 v0, 0x1ff, v1, v0
	v_lshrrev_b32_e32 v13, 16, v10
	v_lshrrev_b32_e32 v10, 8, v1
	s_wait_alu 0xf1ff
	v_cndmask_b32_e64 v16, v20, v17, s0
	v_cmp_ne_u32_e64 s0, v7, v22
	v_fma_f16 v9, v95, v21, -v9
	v_bfe_u32 v17, v1, 20, 11
	v_add_nc_u32_e32 v20, 0xfffffc10, v25
	v_and_or_b32 v13, 0x8000, v13, v16
	s_wait_alu 0xf1ff
	v_cndmask_b32_e64 v7, 0, 1, s0
	v_cmp_ne_u32_e64 s0, 0, v0
	v_cvt_f32_f16_e32 v18, v9
	v_sub_nc_u32_e32 v21, 0x3f1, v17
	s_delay_alu instid0(VALU_DEP_4)
	v_or_b32_e32 v7, v23, v7
	s_wait_alu 0xf1ff
	v_cndmask_b32_e64 v0, 0, 1, s0
	v_cmp_gt_i32_e64 s0, 1, v20
	v_med3_i32 v21, v21, 0, 13
	v_and_b32_e32 v23, 0xffff, v15
	s_delay_alu instid0(VALU_DEP_4)
	v_and_or_b32 v0, 0xffe, v10, v0
	v_mul_f64_e32 v[9:10], s[8:9], v[11:12]
	v_cvt_f64_f32_e32 v[11:12], v18
	v_lshl_or_b32 v18, v20, 12, v24
	v_lshl_or_b32 v23, v13, 16, v23
	v_or_b32_e32 v22, 0x1000, v0
	s_wait_alu 0xf1ff
	s_delay_alu instid0(VALU_DEP_3) | instskip(SKIP_1) | instid1(VALU_DEP_3)
	v_cndmask_b32_e64 v18, v18, v7, s0
	v_add_co_u32 v15, s0, v5, s6
	v_lshrrev_b32_e32 v25, v21, v22
	s_wait_alu 0xf1ff
	v_add_co_ci_u32_e64 v16, s0, s7, v6, s0
	v_and_b32_e32 v5, 7, v18
	v_add_co_u32 v6, s0, v15, s6
	v_lshlrev_b32_e32 v13, v21, v25
	s_wait_alu 0xf1ff
	v_add_co_ci_u32_e64 v7, s0, s7, v16, s0
	v_cmp_lt_i32_e64 s0, 5, v5
	v_cmp_eq_u32_e64 s1, 3, v5
	v_lshrrev_b32_e32 v5, 2, v18
	v_cmp_ne_u32_e64 s2, v13, v22
	v_lshrrev_b32_e32 v22, 16, v14
	v_add_nc_u32_e32 v21, 0xfffffc10, v17
	s_or_b32 s0, s1, s0
	s_wait_alu 0xfffe
	v_add_co_ci_u32_e64 v5, s0, 0, v5, s0
	v_cndmask_b32_e64 v13, 0, 1, s2
	v_cmp_ne_u32_e64 s0, 0, v24
	v_mul_f16_e64 v24, v250, v22
	v_lshl_or_b32 v17, v21, 12, v0
	s_delay_alu instid0(VALU_DEP_4)
	v_or_b32_e32 v13, v25, v13
	s_wait_alu 0xf1ff
	v_cndmask_b32_e64 v18, 0, 1, s0
	v_cmp_gt_i32_e64 s0, 1, v21
	v_fmac_f16_e32 v24, v94, v14
	v_and_or_b32 v9, 0x1ff, v10, v9
	v_mul_f64_e32 v[11:12], s[8:9], v[11:12]
	v_lshl_or_b32 v25, v18, 9, 0x7c00
	s_wait_alu 0xf1ff
	v_cndmask_b32_e64 v13, v17, v13, s0
	v_cmp_gt_i32_e64 s0, 31, v20
	v_cvt_f32_f16_e32 v17, v24
	v_lshrrev_b32_e32 v24, 8, v10
	v_bfe_u32 v27, v10, 20, 11
	v_and_b32_e32 v26, 7, v13
	s_wait_alu 0xf1ff
	v_cndmask_b32_e64 v5, 0x7c00, v5, s0
	v_cmp_ne_u32_e64 s0, 0, v9
	v_cvt_f64_f32_e32 v[17:18], v17
	v_mul_f16_e64 v14, v250, v14
	v_cmp_eq_u32_e64 s1, 3, v26
	v_lshrrev_b32_e32 v13, 2, v13
	s_wait_alu 0xf1ff
	v_cndmask_b32_e64 v9, 0, 1, s0
	v_cmp_eq_u32_e64 s0, 0x40f, v20
	v_fma_f16 v14, v94, v22, -v14
	s_delay_alu instid0(VALU_DEP_3) | instskip(SKIP_1) | instid1(VALU_DEP_3)
	v_and_or_b32 v20, 0xffe, v24, v9
	s_wait_alu 0xf1ff
	v_cndmask_b32_e64 v5, v5, v25, s0
	v_cmp_lt_i32_e64 s0, 5, v26
	v_sub_nc_u32_e32 v9, 0x3f1, v27
	v_cvt_f32_f16_e32 v14, v14
	v_or_b32_e32 v24, 0x1000, v20
	v_and_or_b32 v25, 0x8000, v8, v5
	s_or_b32 s0, s1, s0
	v_med3_i32 v9, v9, 0, 13
	s_wait_alu 0xfffe
	v_add_co_ci_u32_e64 v13, s0, 0, v13, s0
	v_cmp_ne_u32_e64 s0, 0, v0
	v_lshrrev_b32_e32 v26, 16, v1
	v_lshrrev_b32_e32 v22, v9, v24
	v_and_b32_e32 v25, 0xffff, v25
	s_wait_alu 0xf1ff
	v_cndmask_b32_e64 v0, 0, 1, s0
	v_cmp_gt_i32_e64 s0, 31, v21
	v_lshlrev_b32_e32 v5, v9, v22
	v_cvt_f64_f32_e32 v[8:9], v14
	v_lshrrev_b32_e32 v28, 8, v12
	v_lshl_or_b32 v0, v0, 9, 0x7c00
	s_wait_alu 0xf1ff
	v_cndmask_b32_e64 v13, 0x7c00, v13, s0
	v_cmp_eq_u32_e64 s0, 0x40f, v21
	v_bfe_u32 v29, v12, 20, 11
	s_wait_alu 0xf1ff
	s_delay_alu instid0(VALU_DEP_2)
	v_cndmask_b32_e64 v21, v13, v0, s0
	v_and_or_b32 v0, 0x1ff, v12, v11
	v_cmp_ne_u32_e64 s0, v5, v24
	v_add_nc_u32_e32 v24, 0xfffffc10, v27
	v_add_nc_u32_e32 v5, 0xe00, v83
	v_lshrrev_b32_e32 v12, 16, v12
	s_wait_alu 0xf1ff
	v_cndmask_b32_e64 v11, 0, 1, s0
	v_cmp_ne_u32_e64 s0, 0, v0
	v_mul_f64_e32 v[0:1], s[8:9], v[17:18]
	v_and_or_b32 v17, 0x8000, v26, v21
	v_lshl_or_b32 v18, v24, 12, v20
	v_or_b32_e32 v11, v22, v11
	s_wait_alu 0xf1ff
	v_cndmask_b32_e64 v27, 0, 1, s0
	v_sub_nc_u32_e32 v22, 0x3f1, v29
	v_cmp_gt_i32_e64 s0, 1, v24
	ds_load_2addr_b32 v[13:14], v5 offset0:104 offset1:229
	s_clause 0x1
	global_store_b32 v[15:16], v19, off
	global_store_b32 v[6:7], v23, off
	v_and_or_b32 v21, 0xffe, v28, v27
	v_med3_i32 v22, v22, 0, 13
	s_wait_alu 0xf1ff
	v_cndmask_b32_e64 v11, v18, v11, s0
	v_add_co_u32 v15, s0, v6, s6
	v_or_b32_e32 v18, 0x1000, v21
	s_wait_alu 0xf1ff
	v_add_co_ci_u32_e64 v16, s0, s7, v7, s0
	v_and_b32_e32 v19, 7, v11
	v_lshl_or_b32 v17, v17, 16, v25
	v_lshrrev_b32_e32 v23, v22, v18
	v_mul_f64_e32 v[6:7], s[8:9], v[8:9]
	v_lshrrev_b32_e32 v9, 2, v11
	v_cmp_lt_i32_e64 s0, 5, v19
	v_cmp_eq_u32_e64 s1, 3, v19
	v_lshlrev_b32_e32 v22, v22, v23
	global_store_b32 v[15:16], v17, off
	s_wait_dscnt 0x0
	v_lshrrev_b32_e32 v25, 16, v13
	s_or_b32 s0, s1, s0
	v_cmp_ne_u32_e64 s2, v22, v18
	s_wait_alu 0xfffe
	v_add_co_ci_u32_e64 v19, s0, 0, v9, s0
	v_add_nc_u32_e32 v18, 0xfffffc10, v29
	v_cmp_ne_u32_e64 s0, 0, v20
	s_wait_alu 0xf1ff
	v_cndmask_b32_e64 v11, 0, 1, s2
	v_mul_f16_e64 v8, v249, v25
	v_lshl_or_b32 v22, v18, 12, v21
	v_and_or_b32 v0, 0x1ff, v1, v0
	s_delay_alu instid0(VALU_DEP_4) | instskip(SKIP_4) | instid1(VALU_DEP_4)
	v_or_b32_e32 v11, v23, v11
	v_cndmask_b32_e64 v20, 0, 1, s0
	v_cmp_gt_i32_e64 s0, 1, v18
	v_fmac_f16_e32 v8, v92, v13
	v_bfe_u32 v23, v1, 20, 11
	v_lshl_or_b32 v20, v20, 9, 0x7c00
	s_wait_alu 0xf1ff
	v_cndmask_b32_e64 v11, v22, v11, s0
	v_cmp_ne_u32_e64 s0, 0, v0
	v_cvt_f32_f16_e32 v8, v8
	v_lshrrev_b32_e32 v22, 8, v1
	v_lshrrev_b32_e32 v1, 16, v1
	v_and_b32_e32 v26, 7, v11
	s_wait_alu 0xf1ff
	v_cndmask_b32_e64 v0, 0, 1, s0
	v_cmp_gt_i32_e64 s0, 31, v24
	v_cvt_f64_f32_e32 v[8:9], v8
	v_cmp_eq_u32_e64 s1, 3, v26
	s_delay_alu instid0(VALU_DEP_4)
	v_and_or_b32 v0, 0xffe, v22, v0
	s_wait_alu 0xf1ff
	v_cndmask_b32_e64 v19, 0x7c00, v19, s0
	v_sub_nc_u32_e32 v22, 0x3f1, v23
	v_cmp_eq_u32_e64 s0, 0x40f, v24
	v_lshrrev_b32_e32 v24, 16, v10
	v_lshrrev_b32_e32 v10, 2, v11
	v_and_or_b32 v6, 0x1ff, v7, v6
	v_med3_i32 v22, v22, 0, 13
	s_wait_alu 0xf1ff
	v_cndmask_b32_e64 v19, v19, v20, s0
	v_or_b32_e32 v20, 0x1000, v0
	v_cmp_lt_i32_e64 s0, 5, v26
	v_mul_f16_e64 v11, v249, v13
	v_add_nc_u32_e32 v23, 0xfffffc10, v23
	v_and_or_b32 v17, 0x8000, v24, v19
	v_lshrrev_b32_e32 v26, v22, v20
	s_or_b32 s0, s1, s0
	v_fma_f16 v11, v92, v25, -v11
	s_wait_alu 0xfffe
	v_add_co_ci_u32_e64 v13, s0, 0, v10, s0
	v_lshlrev_b32_e32 v10, v22, v26
	v_cmp_ne_u32_e64 s0, 0, v6
	v_lshrrev_b32_e32 v22, 8, v7
	v_bfe_u32 v25, v7, 20, 11
	v_and_b32_e32 v17, 0xffff, v17
	s_wait_alu 0xf1ff
	v_cndmask_b32_e64 v6, 0, 1, s0
	v_cmp_ne_u32_e64 s0, v10, v20
	v_cvt_f32_f16_e32 v10, v11
	s_delay_alu instid0(VALU_DEP_3) | instskip(SKIP_1) | instid1(VALU_DEP_3)
	v_and_or_b32 v6, 0xffe, v22, v6
	s_wait_alu 0xf1ff
	v_cndmask_b32_e64 v20, 0, 1, s0
	v_cmp_ne_u32_e64 s0, 0, v21
	v_sub_nc_u32_e32 v22, 0x3f1, v25
	v_cvt_f64_f32_e32 v[10:11], v10
	v_mul_f64_e32 v[8:9], s[8:9], v[8:9]
	v_or_b32_e32 v20, v26, v20
	s_wait_alu 0xf1ff
	v_cndmask_b32_e64 v21, 0, 1, s0
	v_cmp_gt_i32_e64 s0, 31, v18
	v_lshl_or_b32 v26, v23, 12, v0
	v_or_b32_e32 v27, 0x1000, v6
	v_med3_i32 v22, v22, 0, 13
	v_lshl_or_b32 v21, v21, 9, 0x7c00
	s_wait_alu 0xf1ff
	v_cndmask_b32_e64 v13, 0x7c00, v13, s0
	v_cmp_gt_i32_e64 s0, 1, v23
	s_wait_alu 0xf1ff
	s_delay_alu instid0(VALU_DEP_1) | instskip(SKIP_2) | instid1(VALU_DEP_3)
	v_cndmask_b32_e64 v20, v26, v20, s0
	v_lshrrev_b32_e32 v26, v22, v27
	v_cmp_eq_u32_e64 s0, 0x40f, v18
	v_and_b32_e32 v18, 7, v20
	s_wait_alu 0xf1ff
	s_delay_alu instid0(VALU_DEP_2) | instskip(SKIP_1) | instid1(VALU_DEP_3)
	v_cndmask_b32_e64 v13, v13, v21, s0
	v_lshlrev_b32_e32 v21, v22, v26
	v_cmp_lt_i32_e64 s0, 5, v18
	s_delay_alu instid0(VALU_DEP_3) | instskip(NEXT) | instid1(VALU_DEP_3)
	v_and_or_b32 v19, 0x8000, v12, v13
	v_cmp_ne_u32_e64 s1, v21, v27
	v_lshrrev_b32_e32 v13, 2, v20
	v_add_nc_u32_e32 v21, 0xfffffc10, v25
	s_delay_alu instid0(VALU_DEP_4) | instskip(SKIP_4) | instid1(VALU_DEP_3)
	v_lshl_or_b32 v27, v19, 16, v17
	s_wait_alu 0xf1ff
	v_cndmask_b32_e64 v12, 0, 1, s1
	v_cmp_eq_u32_e64 s1, 3, v18
	v_lshl_or_b32 v18, v21, 12, v6
	v_or_b32_e32 v12, v26, v12
	s_delay_alu instid0(VALU_DEP_3)
	s_or_b32 s0, s1, s0
	v_and_or_b32 v8, 0x1ff, v9, v8
	s_wait_alu 0xfffe
	v_add_co_ci_u32_e64 v13, s0, 0, v13, s0
	v_cmp_ne_u32_e64 s0, 0, v0
	v_mul_f64_e32 v[10:11], s[8:9], v[10:11]
	v_lshrrev_b32_e32 v24, 8, v9
	v_bfe_u32 v25, v9, 20, 11
	v_lshrrev_b32_e32 v9, 16, v9
	s_wait_alu 0xf1ff
	v_cndmask_b32_e64 v0, 0, 1, s0
	v_cmp_gt_i32_e64 s0, 1, v21
	s_delay_alu instid0(VALU_DEP_2) | instskip(SKIP_1) | instid1(VALU_DEP_2)
	v_lshl_or_b32 v0, v0, 9, 0x7c00
	s_wait_alu 0xf1ff
	v_cndmask_b32_e64 v12, v18, v12, s0
	v_lshrrev_b32_e32 v18, 16, v14
	v_cmp_gt_i32_e64 s0, 31, v23
	s_delay_alu instid0(VALU_DEP_3) | instskip(NEXT) | instid1(VALU_DEP_3)
	v_and_b32_e32 v22, 7, v12
	v_mul_f16_e64 v20, v248, v18
	s_wait_alu 0xf1ff
	s_delay_alu instid0(VALU_DEP_3) | instskip(SKIP_4) | instid1(VALU_DEP_3)
	v_cndmask_b32_e64 v13, 0x7c00, v13, s0
	v_cmp_ne_u32_e64 s0, 0, v8
	v_cmp_eq_u32_e64 s1, 3, v22
	v_fmac_f16_e32 v20, v90, v14
	s_wait_alu 0xf1ff
	v_cndmask_b32_e64 v8, 0, 1, s0
	v_cmp_eq_u32_e64 s0, 0x40f, v23
	s_wait_alu 0xf1ff
	s_delay_alu instid0(VALU_DEP_1)
	v_cndmask_b32_e64 v0, v13, v0, s0
	v_cvt_f32_f16_e32 v13, v20
	v_cmp_lt_i32_e64 s0, 5, v22
	v_lshrrev_b32_e32 v22, 2, v12
	v_and_or_b32 v20, 0xffe, v24, v8
	v_sub_nc_u32_e32 v8, 0x3f1, v25
	v_cvt_f64_f32_e32 v[12:13], v13
	s_or_b32 s0, s1, s0
	v_and_or_b32 v26, 0x8000, v1, v0
	s_wait_alu 0xfffe
	v_add_co_ci_u32_e64 v22, s0, 0, v22, s0
	v_or_b32_e32 v23, 0x1000, v20
	v_med3_i32 v8, v8, 0, 13
	v_cmp_ne_u32_e64 s0, 0, v6
	v_mul_f16_e64 v0, v248, v14
	v_and_b32_e32 v19, 0xffff, v26
	s_delay_alu instid0(VALU_DEP_4)
	v_lshrrev_b32_e32 v24, v8, v23
	s_wait_alu 0xf1ff
	v_cndmask_b32_e64 v6, 0, 1, s0
	v_cmp_gt_i32_e64 s0, 31, v21
	v_fma_f16 v0, v90, v18, -v0
	v_lshrrev_b32_e32 v18, 8, v11
	v_lshlrev_b32_e32 v1, v8, v24
	v_lshl_or_b32 v6, v6, 9, 0x7c00
	s_wait_alu 0xf1ff
	v_cndmask_b32_e64 v22, 0x7c00, v22, s0
	v_cmp_eq_u32_e64 s0, 0x40f, v21
	v_cvt_f32_f16_e32 v0, v0
	v_lshrrev_b32_e32 v21, 16, v7
	s_wait_alu 0xf1ff
	s_delay_alu instid0(VALU_DEP_3)
	v_cndmask_b32_e64 v14, v22, v6, s0
	v_and_or_b32 v6, 0x1ff, v11, v10
	v_cmp_ne_u32_e64 s0, v1, v23
	v_cvt_f64_f32_e32 v[0:1], v0
	v_add_nc_u32_e32 v10, 0xfffffc10, v25
	v_bfe_u32 v22, v11, 20, 11
	v_and_or_b32 v17, 0x8000, v21, v14
	s_wait_alu 0xf1ff
	v_cndmask_b32_e64 v7, 0, 1, s0
	v_cmp_ne_u32_e64 s0, 0, v6
	v_add_nc_u32_e32 v6, 0x1200, v83
	v_lshl_or_b32 v28, v17, 16, v19
	s_delay_alu instid0(VALU_DEP_4)
	v_or_b32_e32 v23, v24, v7
	s_wait_alu 0xf1ff
	v_cndmask_b32_e64 v8, 0, 1, s0
	v_lshl_or_b32 v24, v10, 12, v20
	v_cmp_gt_i32_e64 s0, 1, v10
	v_mul_f64_e32 v[12:13], s[8:9], v[12:13]
	s_delay_alu instid0(VALU_DEP_4)
	v_and_or_b32 v25, 0xffe, v18, v8
	ds_load_2addr_b32 v[7:8], v6 offset0:98 offset1:223
	v_sub_nc_u32_e32 v18, 0x3f1, v22
	s_wait_alu 0xf1ff
	v_cndmask_b32_e64 v23, v24, v23, s0
	v_add_co_u32 v14, s0, v15, s6
	v_or_b32_e32 v24, 0x1000, v25
	v_med3_i32 v18, v18, 0, 13
	s_delay_alu instid0(VALU_DEP_4)
	v_and_b32_e32 v21, 7, v23
	s_wait_alu 0xf1ff
	v_add_co_ci_u32_e64 v15, s0, s7, v16, s0
	v_lshrrev_b32_e32 v17, 2, v23
	v_lshrrev_b32_e32 v26, v18, v24
	v_cmp_lt_i32_e64 s0, 5, v21
	v_cmp_eq_u32_e64 s1, 3, v21
	v_add_nc_u32_e32 v22, 0xfffffc10, v22
	s_delay_alu instid0(VALU_DEP_4) | instskip(NEXT) | instid1(VALU_DEP_3)
	v_lshlrev_b32_e32 v16, v18, v26
	s_or_b32 s0, s1, s0
	s_delay_alu instid0(VALU_DEP_2)
	v_lshl_or_b32 v19, v22, 12, v25
	s_wait_dscnt 0x0
	v_lshrrev_b32_e32 v21, 16, v7
	v_cmp_ne_u32_e64 s2, v16, v24
	s_wait_alu 0xfffe
	v_add_co_ci_u32_e64 v17, s0, 0, v17, s0
	v_cmp_ne_u32_e64 s0, 0, v20
	v_mul_f16_e32 v18, v110, v21
	s_wait_alu 0xf1ff
	v_cndmask_b32_e64 v16, 0, 1, s2
	v_mul_f64_e32 v[0:1], s[8:9], v[0:1]
	v_cndmask_b32_e64 v20, 0, 1, s0
	v_fmac_f16_e32 v18, v88, v7
	s_delay_alu instid0(VALU_DEP_4)
	v_or_b32_e32 v16, v26, v16
	v_cmp_gt_i32_e64 s0, 1, v22
	v_mul_f16_e32 v7, v110, v7
	v_lshl_or_b32 v20, v20, 9, 0x7c00
	v_and_or_b32 v12, 0x1ff, v13, v12
	s_wait_alu 0xf1ff
	v_cndmask_b32_e64 v23, v19, v16, s0
	v_cvt_f32_f16_e32 v16, v18
	v_cmp_gt_i32_e64 s0, 31, v10
	v_cmp_ne_u32_e64 s1, 0, v12
	v_fma_f16 v7, v88, v21, -v7
	v_and_b32_e32 v26, 7, v23
	v_lshrrev_b32_e32 v23, 2, v23
	s_wait_alu 0xf1ff
	v_cndmask_b32_e64 v24, 0x7c00, v17, s0
	v_cvt_f64_f32_e32 v[16:17], v16
	v_add_co_u32 v18, s0, v14, s6
	s_wait_alu 0xf1ff
	v_add_co_ci_u32_e64 v19, s0, s7, v15, s0
	v_cmp_eq_u32_e64 s0, 0x40f, v10
	v_cndmask_b32_e64 v12, 0, 1, s1
	v_cmp_eq_u32_e64 s1, 3, v26
	v_cvt_f32_f16_e32 v7, v7
	global_store_b32 v[14:15], v27, off
	global_store_b32 v[18:19], v28, off
	s_wait_alu 0xf1ff
	v_cndmask_b32_e64 v10, v24, v20, s0
	v_cmp_lt_i32_e64 s0, 5, v26
	v_lshrrev_b32_e32 v20, 8, v13
	v_bfe_u32 v24, v13, 20, 11
	v_lshrrev_b32_e32 v13, 16, v13
	v_and_or_b32 v29, 0x8000, v9, v10
	s_or_b32 s0, s1, s0
	v_and_or_b32 v20, 0xffe, v20, v12
	s_wait_alu 0xfffe
	v_add_co_ci_u32_e64 v23, s0, 0, v23, s0
	v_sub_nc_u32_e32 v12, 0x3f1, v24
	v_cmp_ne_u32_e64 s0, 0, v25
	v_or_b32_e32 v26, 0x1000, v20
	v_and_or_b32 v0, 0x1ff, v1, v0
	v_add_nc_u32_e32 v21, 0xfffffc10, v24
	v_med3_i32 v12, v12, 0, 13
	s_wait_alu 0xf1ff
	v_cndmask_b32_e64 v25, 0, 1, s0
	v_cmp_gt_i32_e64 s0, 31, v22
	v_cmp_eq_u32_e64 s2, 0x40f, v21
	v_lshrrev_b32_e32 v30, v12, v26
	s_delay_alu instid0(VALU_DEP_4) | instskip(SKIP_4) | instid1(VALU_DEP_1)
	v_lshl_or_b32 v25, v25, 9, 0x7c00
	s_wait_alu 0xf1ff
	v_cndmask_b32_e64 v23, 0x7c00, v23, s0
	v_cmp_eq_u32_e64 s0, 0x40f, v22
	s_wait_alu 0xf1ff
	v_cndmask_b32_e64 v22, v23, v25, s0
	v_lshrrev_b32_e32 v23, 16, v11
	v_lshlrev_b32_e32 v11, v12, v30
	v_cmp_ne_u32_e64 s0, 0, v0
	v_lshrrev_b32_e32 v12, 8, v1
	v_bfe_u32 v25, v1, 20, 11
	v_mul_f64_e32 v[9:10], s[8:9], v[16:17]
	v_lshl_or_b32 v17, v21, 12, v20
	s_wait_alu 0xf1ff
	v_cndmask_b32_e64 v0, 0, 1, s0
	v_cmp_ne_u32_e64 s0, v11, v26
	v_lshrrev_b32_e32 v1, 16, v1
	s_delay_alu instid0(VALU_DEP_3) | instskip(SKIP_1) | instid1(VALU_DEP_3)
	v_and_or_b32 v0, 0xffe, v12, v0
	s_wait_alu 0xf1ff
	v_cndmask_b32_e64 v11, 0, 1, s0
	v_sub_nc_u32_e32 v12, 0x3f1, v25
	v_cmp_gt_i32_e64 s0, 1, v21
	v_or_b32_e32 v24, 0x1000, v0
	s_delay_alu instid0(VALU_DEP_4) | instskip(NEXT) | instid1(VALU_DEP_4)
	v_or_b32_e32 v16, v30, v11
	v_med3_i32 v26, v12, 0, 13
	v_cvt_f64_f32_e32 v[11:12], v7
	v_and_or_b32 v7, 0x8000, v23, v22
	v_and_b32_e32 v22, 0xffff, v29
	s_wait_alu 0xf1ff
	v_cndmask_b32_e64 v16, v17, v16, s0
	v_lshrrev_b32_e32 v17, v26, v24
	v_add_co_u32 v14, s0, v18, s6
	v_lshl_or_b32 v22, v7, 16, v22
	s_delay_alu instid0(VALU_DEP_4) | instskip(NEXT) | instid1(VALU_DEP_4)
	v_and_b32_e32 v7, 7, v16
	v_lshlrev_b32_e32 v23, v26, v17
	v_lshrrev_b32_e32 v18, 16, v8
	s_wait_alu 0xf1ff
	v_add_co_ci_u32_e64 v15, s0, s7, v19, s0
	v_cmp_lt_i32_e64 s0, 5, v7
	v_cmp_ne_u32_e64 s1, v23, v24
	v_add_nc_u32_e32 v23, 0xfffffc10, v25
	v_mul_f16_e32 v24, v109, v18
	s_wait_alu 0xf1ff
	s_delay_alu instid0(VALU_DEP_3)
	v_cndmask_b32_e64 v19, 0, 1, s1
	v_cmp_eq_u32_e64 s1, 3, v7
	v_lshrrev_b32_e32 v7, 2, v16
	v_fmac_f16_e32 v24, v85, v8
	v_and_or_b32 v9, 0x1ff, v10, v9
	v_or_b32_e32 v16, v17, v19
	s_or_b32 s0, s1, s0
	v_lshl_or_b32 v17, v23, 12, v0
	s_wait_alu 0xfffe
	v_add_co_ci_u32_e64 v7, s0, 0, v7, s0
	v_cmp_gt_i32_e64 s0, 1, v23
	v_cvt_f32_f16_e32 v19, v24
	v_lshrrev_b32_e32 v25, 8, v10
	s_wait_alu 0xf1ff
	s_delay_alu instid0(VALU_DEP_3)
	v_cndmask_b32_e64 v24, v17, v16, s0
	v_cmp_ne_u32_e64 s0, 0, v9
	v_cvt_f64_f32_e32 v[16:17], v19
	v_bfe_u32 v19, v10, 20, 11
	v_mul_f64_e32 v[11:12], s[8:9], v[11:12]
	v_and_b32_e32 v26, 7, v24
	s_wait_alu 0xf1ff
	v_cndmask_b32_e64 v9, 0, 1, s0
	v_cmp_ne_u32_e64 s0, 0, v20
	v_lshrrev_b32_e32 v24, 2, v24
	v_cmp_eq_u32_e64 s1, 3, v26
	s_delay_alu instid0(VALU_DEP_4)
	v_and_or_b32 v9, 0xffe, v25, v9
	s_wait_alu 0xf1ff
	v_cndmask_b32_e64 v20, 0, 1, s0
	v_cmp_gt_i32_e64 s0, 31, v21
	v_sub_nc_u32_e32 v25, 0x3f1, v19
	v_or_b32_e32 v27, 0x1000, v9
	s_delay_alu instid0(VALU_DEP_4) | instskip(SKIP_4) | instid1(VALU_DEP_3)
	v_lshl_or_b32 v20, v20, 9, 0x7c00
	s_wait_alu 0xf1ff
	v_cndmask_b32_e64 v7, 0x7c00, v7, s0
	v_cmp_lt_i32_e64 s0, 5, v26
	v_med3_i32 v25, v25, 0, 13
	v_cndmask_b32_e64 v7, v7, v20, s2
	s_delay_alu instid0(VALU_DEP_3) | instskip(NEXT) | instid1(VALU_DEP_2)
	s_or_b32 s0, s1, s0
	v_lshrrev_b32_e32 v20, v25, v27
	s_wait_alu 0xfffe
	v_add_co_ci_u32_e64 v21, s0, 0, v24, s0
	v_cmp_ne_u32_e64 s0, 0, v0
	v_and_or_b32 v13, 0x8000, v13, v7
	v_lshlrev_b32_e32 v24, v25, v20
	s_wait_alu 0xf1ff
	s_delay_alu instid0(VALU_DEP_3) | instskip(SKIP_2) | instid1(VALU_DEP_3)
	v_cndmask_b32_e64 v0, 0, 1, s0
	v_cmp_gt_i32_e64 s0, 31, v23
	v_and_b32_e32 v13, 0xffff, v13
	v_lshl_or_b32 v0, v0, 9, 0x7c00
	s_wait_alu 0xf1ff
	s_delay_alu instid0(VALU_DEP_3) | instskip(SKIP_3) | instid1(VALU_DEP_2)
	v_cndmask_b32_e64 v21, 0x7c00, v21, s0
	v_cmp_ne_u32_e64 s0, v24, v27
	v_and_or_b32 v11, 0x1ff, v12, v11
	s_wait_alu 0xf1ff
	v_cndmask_b32_e64 v7, 0, 1, s0
	v_cmp_eq_u32_e64 s0, 0x40f, v23
	v_mul_f16_e32 v23, v109, v8
	s_delay_alu instid0(VALU_DEP_3) | instskip(SKIP_1) | instid1(VALU_DEP_3)
	v_or_b32_e32 v20, v20, v7
	s_wait_alu 0xf1ff
	v_cndmask_b32_e64 v0, v21, v0, s0
	v_add_nc_u32_e32 v21, 0xfffffc10, v19
	ds_load_b32 v19, v83 offset:6000
	v_mul_f64_e32 v[7:8], s[8:9], v[16:17]
	v_fma_f16 v17, v85, v18, -v23
	v_lshrrev_b32_e32 v18, 8, v12
	v_lshl_or_b32 v16, v21, 12, v9
	v_cmp_gt_i32_e64 s0, 1, v21
	v_and_or_b32 v23, 0x8000, v1, v0
	v_cvt_f32_f16_e32 v17, v17
	s_wait_alu 0xf1ff
	s_delay_alu instid0(VALU_DEP_3)
	v_cndmask_b32_e64 v16, v16, v20, s0
	v_cmp_ne_u32_e64 s0, 0, v11
	v_bfe_u32 v20, v12, 20, 11
	v_cvt_f64_f32_e32 v[0:1], v17
	v_lshl_or_b32 v13, v23, 16, v13
	v_and_b32_e32 v24, 7, v16
	s_wait_alu 0xf1ff
	v_cndmask_b32_e64 v11, 0, 1, s0
	v_sub_nc_u32_e32 v17, 0x3f1, v20
	v_lshrrev_b32_e32 v16, 2, v16
	v_add_nc_u32_e32 v20, 0xfffffc10, v20
	v_cmp_lt_i32_e64 s0, 5, v24
	v_and_or_b32 v11, 0xffe, v18, v11
	s_wait_dscnt 0x0
	v_lshrrev_b32_e32 v18, 16, v19
	v_cmp_eq_u32_e64 s1, 3, v24
	v_med3_i32 v17, v17, 0, 13
	v_or_b32_e32 v25, 0x1000, v11
	s_delay_alu instid0(VALU_DEP_4) | instskip(NEXT) | instid1(VALU_DEP_4)
	v_mul_f16_e64 v26, v247, v18
	s_or_b32 s0, s1, s0
	s_wait_alu 0xfffe
	v_add_co_ci_u32_e64 v16, s0, 0, v16, s0
	v_lshrrev_b32_e32 v23, v17, v25
	v_fmac_f16_e32 v26, v84, v19
	v_cmp_ne_u32_e64 s0, 0, v9
	v_mul_f16_e64 v19, v247, v19
	s_delay_alu instid0(VALU_DEP_4) | instskip(NEXT) | instid1(VALU_DEP_4)
	v_lshlrev_b32_e32 v24, v17, v23
	v_cvt_f32_f16_e32 v17, v26
	s_wait_alu 0xf1ff
	v_cndmask_b32_e64 v9, 0, 1, s0
	v_cmp_gt_i32_e64 s0, 31, v21
	v_and_or_b32 v7, 0x1ff, v8, v7
	v_fma_f16 v18, v84, v18, -v19
	v_lshl_or_b32 v19, v20, 12, v11
	v_lshl_or_b32 v9, v9, 9, 0x7c00
	s_wait_alu 0xf1ff
	v_cndmask_b32_e64 v26, 0x7c00, v16, s0
	v_cvt_f64_f32_e32 v[16:17], v17
	v_cmp_ne_u32_e64 s0, v24, v25
	v_lshrrev_b32_e32 v25, 8, v8
	v_cvt_f32_f16_e32 v18, v18
	v_mul_f64_e32 v[0:1], s[8:9], v[0:1]
	s_wait_alu 0xf1ff
	v_cndmask_b32_e64 v24, 0, 1, s0
	v_cmp_ne_u32_e64 s0, 0, v7
	s_delay_alu instid0(VALU_DEP_2) | instskip(SKIP_1) | instid1(VALU_DEP_2)
	v_or_b32_e32 v23, v23, v24
	s_wait_alu 0xf1ff
	v_cndmask_b32_e64 v7, 0, 1, s0
	v_bfe_u32 v24, v8, 20, 11
	v_cmp_gt_i32_e64 s0, 1, v20
	v_lshrrev_b32_e32 v8, 16, v8
	s_delay_alu instid0(VALU_DEP_4) | instskip(NEXT) | instid1(VALU_DEP_4)
	v_and_or_b32 v7, 0xffe, v25, v7
	v_sub_nc_u32_e32 v25, 0x3f1, v24
	s_wait_alu 0xf1ff
	v_cndmask_b32_e64 v23, v19, v23, s0
	v_cmp_eq_u32_e64 s0, 0x40f, v21
	v_cvt_f64_f32_e32 v[18:19], v18
	v_or_b32_e32 v27, 0x1000, v7
	v_med3_i32 v25, v25, 0, 13
	v_and_b32_e32 v28, 7, v23
	s_wait_alu 0xf1ff
	v_cndmask_b32_e64 v21, v26, v9, s0
	v_add_co_u32 v9, s0, v14, s6
	v_lshrrev_b32_e32 v29, v25, v27
	v_lshrrev_b32_e32 v26, 16, v10
	s_wait_alu 0xf1ff
	v_add_co_ci_u32_e64 v10, s0, s7, v15, s0
	v_cmp_lt_i32_e64 s0, 5, v28
	v_cmp_eq_u32_e64 s1, 3, v28
	v_lshrrev_b32_e32 v23, 2, v23
	v_lshlrev_b32_e32 v25, v25, v29
	v_add_nc_u32_e32 v24, 0xfffffc10, v24
	v_and_or_b32 v21, 0x8000, v26, v21
	s_or_b32 s0, s1, s0
	v_mul_f64_e32 v[16:17], s[8:9], v[16:17]
	s_wait_alu 0xfffe
	v_add_co_ci_u32_e64 v23, s0, 0, v23, s0
	v_cmp_ne_u32_e64 s2, v25, v27
	v_cmp_ne_u32_e64 s0, 0, v11
	v_lshl_or_b32 v26, v24, 12, v7
	v_and_or_b32 v0, 0x1ff, v1, v0
	v_lshrrev_b32_e32 v27, 8, v1
	s_wait_alu 0xf1ff
	v_cndmask_b32_e64 v25, 0, 1, s2
	v_cndmask_b32_e64 v11, 0, 1, s0
	v_cmp_gt_i32_e64 s0, 31, v20
	s_delay_alu instid0(VALU_DEP_3) | instskip(NEXT) | instid1(VALU_DEP_3)
	v_or_b32_e32 v25, v29, v25
	v_lshl_or_b32 v11, v11, 9, 0x7c00
	s_wait_alu 0xf1ff
	s_delay_alu instid0(VALU_DEP_3) | instskip(SKIP_2) | instid1(VALU_DEP_1)
	v_cndmask_b32_e64 v23, 0x7c00, v23, s0
	v_cmp_gt_i32_e64 s0, 1, v24
	s_wait_alu 0xf1ff
	v_cndmask_b32_e64 v25, v26, v25, s0
	v_cmp_eq_u32_e64 s0, 0x40f, v20
	s_delay_alu instid0(VALU_DEP_2) | instskip(SKIP_1) | instid1(VALU_DEP_2)
	v_and_b32_e32 v26, 7, v25
	s_wait_alu 0xf1ff
	v_cndmask_b32_e64 v20, v23, v11, s0
	v_lshrrev_b32_e32 v23, 16, v12
	v_cmp_ne_u32_e64 s0, 0, v0
	v_mul_f64_e32 v[11:12], s[8:9], v[18:19]
	v_bfe_u32 v18, v1, 20, 11
	v_cmp_eq_u32_e64 s1, 3, v26
	v_and_or_b32 v19, 0x8000, v23, v20
	v_and_b32_e32 v20, 0xffff, v21
	s_wait_alu 0xf1ff
	v_cndmask_b32_e64 v0, 0, 1, s0
	v_cmp_lt_i32_e64 s0, 5, v26
	v_sub_nc_u32_e32 v21, 0x3f1, v18
	v_and_or_b32 v16, 0x1ff, v17, v16
	v_lshl_or_b32 v19, v19, 16, v20
	v_lshrrev_b32_e32 v20, 2, v25
	v_and_or_b32 v0, 0xffe, v27, v0
	s_or_b32 s0, s1, s0
	v_med3_i32 v21, v21, 0, 13
	v_lshrrev_b32_e32 v26, 8, v17
	s_wait_alu 0xfffe
	v_add_co_ci_u32_e64 v20, s0, 0, v20, s0
	v_or_b32_e32 v23, 0x1000, v0
	v_cmp_ne_u32_e64 s0, 0, v7
	v_bfe_u32 v27, v17, 20, 11
	v_add_nc_u32_e32 v18, 0xfffffc10, v18
	v_lshrrev_b32_e32 v1, 16, v1
	v_lshrrev_b32_e32 v25, v21, v23
	s_wait_alu 0xf1ff
	v_cndmask_b32_e64 v7, 0, 1, s0
	v_cmp_gt_i32_e64 s0, 31, v24
	v_lshrrev_b32_e32 v17, 16, v17
	v_lshlrev_b32_e32 v21, v21, v25
	s_delay_alu instid0(VALU_DEP_4) | instskip(SKIP_4) | instid1(VALU_DEP_1)
	v_lshl_or_b32 v7, v7, 9, 0x7c00
	s_wait_alu 0xf1ff
	v_cndmask_b32_e64 v20, 0x7c00, v20, s0
	v_cmp_ne_u32_e64 s0, 0, v16
	s_wait_alu 0xf1ff
	v_cndmask_b32_e64 v16, 0, 1, s0
	v_cmp_ne_u32_e64 s0, v21, v23
	v_sub_nc_u32_e32 v23, 0x3f1, v27
	v_and_or_b32 v11, 0x1ff, v12, v11
	s_delay_alu instid0(VALU_DEP_4)
	v_and_or_b32 v16, 0xffe, v26, v16
	s_wait_alu 0xf1ff
	v_cndmask_b32_e64 v21, 0, 1, s0
	v_cmp_eq_u32_e64 s0, 0x40f, v24
	v_med3_i32 v23, v23, 0, 13
	v_bfe_u32 v26, v12, 20, 11
	v_or_b32_e32 v24, 0x1000, v16
	s_wait_alu 0xf1ff
	v_cndmask_b32_e64 v7, v20, v7, s0
	v_or_b32_e32 v20, v25, v21
	v_lshl_or_b32 v21, v18, 12, v0
	v_cmp_gt_i32_e64 s0, 1, v18
	v_lshrrev_b32_e32 v25, 8, v12
	v_and_or_b32 v7, 0x8000, v8, v7
	v_lshrrev_b32_e32 v12, 16, v12
	s_wait_alu 0xf1ff
	v_cndmask_b32_e64 v20, v21, v20, s0
	v_lshrrev_b32_e32 v21, v23, v24
	v_cmp_ne_u32_e64 s0, 0, v11
	s_delay_alu instid0(VALU_DEP_3) | instskip(NEXT) | instid1(VALU_DEP_3)
	v_and_b32_e32 v28, 7, v20
	v_lshlrev_b32_e32 v23, v23, v21
	s_wait_alu 0xf1ff
	s_delay_alu instid0(VALU_DEP_3) | instskip(SKIP_3) | instid1(VALU_DEP_4)
	v_cndmask_b32_e64 v11, 0, 1, s0
	v_lshrrev_b32_e32 v20, 2, v20
	v_cmp_lt_i32_e64 s0, 5, v28
	v_cmp_ne_u32_e64 s1, v23, v24
	v_and_or_b32 v8, 0xffe, v25, v11
	v_sub_nc_u32_e32 v11, 0x3f1, v26
	v_add_nc_u32_e32 v25, 0xfffffc10, v27
	s_wait_alu 0xf1ff
	v_cndmask_b32_e64 v23, 0, 1, s1
	v_cmp_eq_u32_e64 s1, 3, v28
	v_or_b32_e32 v24, 0x1000, v8
	v_med3_i32 v11, v11, 0, 13
	v_lshl_or_b32 v27, v25, 12, v16
	v_or_b32_e32 v21, v21, v23
	s_or_b32 s0, s1, s0
	s_wait_alu 0xfffe
	v_add_co_ci_u32_e64 v20, s0, 0, v20, s0
	v_lshrrev_b32_e32 v23, v11, v24
	v_cmp_gt_i32_e64 s0, 1, v25
	s_delay_alu instid0(VALU_DEP_2) | instskip(SKIP_1) | instid1(VALU_DEP_2)
	v_lshlrev_b32_e32 v11, v11, v23
	s_wait_alu 0xf1ff
	v_cndmask_b32_e64 v21, v27, v21, s0
	v_cmp_ne_u32_e64 s0, 0, v0
	s_wait_alu 0xf1ff
	s_delay_alu instid0(VALU_DEP_1) | instskip(SKIP_3) | instid1(VALU_DEP_4)
	v_cndmask_b32_e64 v0, 0, 1, s0
	v_cmp_ne_u32_e64 s0, v11, v24
	v_add_nc_u32_e32 v24, 0xfffffc10, v26
	v_and_b32_e32 v26, 7, v21
	v_lshl_or_b32 v0, v0, 9, 0x7c00
	s_wait_alu 0xf1ff
	v_cndmask_b32_e64 v11, 0, 1, s0
	v_cmp_gt_i32_e64 s0, 31, v18
	v_cmp_gt_i32_e64 s2, 1, v24
	v_cmp_eq_u32_e64 s1, 3, v26
	s_delay_alu instid0(VALU_DEP_4) | instskip(SKIP_4) | instid1(VALU_DEP_3)
	v_or_b32_e32 v11, v23, v11
	v_lshl_or_b32 v23, v24, 12, v8
	s_wait_alu 0xf1ff
	v_cndmask_b32_e64 v20, 0x7c00, v20, s0
	v_cmp_lt_i32_e64 s0, 5, v26
	v_cndmask_b32_e64 v11, v23, v11, s2
	v_cmp_eq_u32_e64 s2, 0x40f, v18
	v_lshrrev_b32_e32 v18, 2, v21
	s_delay_alu instid0(VALU_DEP_4) | instskip(NEXT) | instid1(VALU_DEP_2)
	s_or_b32 s0, s1, s0
	v_cndmask_b32_e64 v0, v20, v0, s2
	s_wait_alu 0xfffe
	s_delay_alu instid0(VALU_DEP_2)
	v_add_co_ci_u32_e64 v18, s0, 0, v18, s0
	v_and_b32_e32 v20, 7, v11
	v_cmp_ne_u32_e64 s0, 0, v16
	v_lshrrev_b32_e32 v11, 2, v11
	v_cmp_gt_i32_e64 s2, 31, v25
	v_and_or_b32 v0, 0x8000, v1, v0
	v_cmp_eq_u32_e64 s1, 3, v20
	s_wait_alu 0xf1ff
	v_cndmask_b32_e64 v16, 0, 1, s0
	v_cmp_lt_i32_e64 s0, 5, v20
	v_cndmask_b32_e64 v18, 0x7c00, v18, s2
	v_and_b32_e32 v1, 0xffff, v7
	s_delay_alu instid0(VALU_DEP_4) | instskip(NEXT) | instid1(VALU_DEP_4)
	v_lshl_or_b32 v16, v16, 9, 0x7c00
	s_or_b32 s0, s1, s0
	s_wait_alu 0xfffe
	v_add_co_ci_u32_e64 v11, s0, 0, v11, s0
	v_cmp_ne_u32_e64 s0, 0, v8
	s_wait_alu 0xf1ff
	s_delay_alu instid0(VALU_DEP_1) | instskip(SKIP_1) | instid1(VALU_DEP_2)
	v_cndmask_b32_e64 v8, 0, 1, s0
	v_cmp_eq_u32_e64 s0, 0x40f, v25
	v_lshl_or_b32 v8, v8, 9, 0x7c00
	s_wait_alu 0xf1ff
	s_delay_alu instid0(VALU_DEP_2) | instskip(SKIP_1) | instid1(VALU_DEP_2)
	v_cndmask_b32_e64 v16, v18, v16, s0
	v_cmp_gt_i32_e64 s0, 31, v24
	v_and_or_b32 v16, 0x8000, v17, v16
	s_wait_alu 0xf1ff
	s_delay_alu instid0(VALU_DEP_2) | instskip(SKIP_4) | instid1(VALU_DEP_3)
	v_cndmask_b32_e64 v11, 0x7c00, v11, s0
	v_cmp_eq_u32_e64 s0, 0x40f, v24
	v_lshl_or_b32 v17, v0, 16, v1
	v_and_b32_e32 v1, 0xffff, v16
	s_wait_alu 0xf1ff
	v_cndmask_b32_e64 v11, v11, v8, s0
	v_add_co_u32 v7, s0, v9, s6
	s_wait_alu 0xf1ff
	v_add_co_ci_u32_e64 v8, s0, s7, v10, s0
	s_delay_alu instid0(VALU_DEP_3) | instskip(NEXT) | instid1(VALU_DEP_3)
	v_and_or_b32 v0, 0x8000, v12, v11
	v_add_co_u32 v11, s0, v7, s6
	s_wait_alu 0xf1ff
	s_delay_alu instid0(VALU_DEP_3) | instskip(NEXT) | instid1(VALU_DEP_3)
	v_add_co_ci_u32_e64 v12, s0, s7, v8, s0
	v_lshl_or_b32 v16, v0, 16, v1
	s_delay_alu instid0(VALU_DEP_3) | instskip(SKIP_1) | instid1(VALU_DEP_3)
	v_add_co_u32 v0, s0, v11, s6
	s_wait_alu 0xf1ff
	v_add_co_ci_u32_e64 v1, s0, s7, v12, s0
	global_store_b32 v[14:15], v22, off
	global_store_b32 v[9:10], v13, off
	;; [unrolled: 1-line block ×5, first 2 shown]
	s_and_b32 exec_lo, exec_lo, vcc_lo
	s_cbranch_execz .LBB0_15
; %bb.14:
	global_load_b32 v7, v[56:57], off offset:260
	ds_load_b32 v8, v112 offset:260
	v_mad_co_u64_u32 v[0:1], null, 0xffffe994, s4, v[0:1]
	s_wait_dscnt 0x0
	v_lshrrev_b32_e32 v9, 16, v8
	s_wait_loadcnt 0x0
	v_lshrrev_b32_e32 v10, 16, v7
	s_delay_alu instid0(VALU_DEP_1) | instskip(SKIP_1) | instid1(VALU_DEP_2)
	v_mul_f16_e32 v11, v9, v10
	v_mul_f16_e32 v10, v8, v10
	v_fmac_f16_e32 v11, v8, v7
	s_delay_alu instid0(VALU_DEP_2) | instskip(NEXT) | instid1(VALU_DEP_2)
	v_fma_f16 v7, v7, v9, -v10
	v_cvt_f32_f16_e32 v8, v11
	s_delay_alu instid0(VALU_DEP_2) | instskip(NEXT) | instid1(VALU_DEP_2)
	v_cvt_f32_f16_e32 v9, v7
	v_cvt_f64_f32_e32 v[7:8], v8
	s_delay_alu instid0(VALU_DEP_2) | instskip(NEXT) | instid1(VALU_DEP_2)
	v_cvt_f64_f32_e32 v[9:10], v9
	v_mul_f64_e32 v[7:8], s[8:9], v[7:8]
	s_delay_alu instid0(VALU_DEP_2) | instskip(NEXT) | instid1(VALU_DEP_2)
	v_mul_f64_e32 v[9:10], s[8:9], v[9:10]
	v_and_or_b32 v7, 0x1ff, v8, v7
	s_delay_alu instid0(VALU_DEP_2)
	v_and_or_b32 v9, 0x1ff, v10, v9
	v_lshrrev_b32_e32 v11, 8, v8
	v_bfe_u32 v12, v8, 20, 11
	v_lshrrev_b32_e32 v13, 8, v10
	v_cmp_ne_u32_e32 vcc_lo, 0, v7
	v_bfe_u32 v14, v10, 20, 11
	v_lshrrev_b32_e32 v8, 16, v8
	v_sub_nc_u32_e32 v15, 0x3f1, v12
	v_lshrrev_b32_e32 v10, 16, v10
	s_wait_alu 0xfffd
	v_cndmask_b32_e64 v7, 0, 1, vcc_lo
	v_cmp_ne_u32_e32 vcc_lo, 0, v9
	s_delay_alu instid0(VALU_DEP_2) | instskip(SKIP_3) | instid1(VALU_DEP_2)
	v_and_or_b32 v7, 0xffe, v11, v7
	s_wait_alu 0xfffd
	v_cndmask_b32_e64 v9, 0, 1, vcc_lo
	v_sub_nc_u32_e32 v11, 0x3f1, v14
	v_and_or_b32 v9, 0xffe, v13, v9
	v_med3_i32 v13, v15, 0, 13
	v_or_b32_e32 v15, 0x1000, v7
	s_delay_alu instid0(VALU_DEP_4) | instskip(NEXT) | instid1(VALU_DEP_4)
	v_med3_i32 v11, v11, 0, 13
	v_or_b32_e32 v16, 0x1000, v9
	s_delay_alu instid0(VALU_DEP_3) | instskip(NEXT) | instid1(VALU_DEP_2)
	v_lshrrev_b32_e32 v17, v13, v15
	v_lshrrev_b32_e32 v18, v11, v16
	s_delay_alu instid0(VALU_DEP_2) | instskip(NEXT) | instid1(VALU_DEP_2)
	v_lshlrev_b32_e32 v13, v13, v17
	v_lshlrev_b32_e32 v11, v11, v18
	s_delay_alu instid0(VALU_DEP_2) | instskip(SKIP_2) | instid1(VALU_DEP_3)
	v_cmp_ne_u32_e32 vcc_lo, v13, v15
	s_wait_alu 0xfffd
	v_cndmask_b32_e64 v13, 0, 1, vcc_lo
	v_cmp_ne_u32_e32 vcc_lo, v11, v16
	s_delay_alu instid0(VALU_DEP_2) | instskip(SKIP_3) | instid1(VALU_DEP_2)
	v_or_b32_e32 v13, v17, v13
	v_add_nc_u32_e32 v12, 0xfffffc10, v12
	s_wait_alu 0xfffd
	v_cndmask_b32_e64 v11, 0, 1, vcc_lo
	v_lshl_or_b32 v15, v12, 12, v7
	s_delay_alu instid0(VALU_DEP_2) | instskip(SKIP_2) | instid1(VALU_DEP_2)
	v_or_b32_e32 v11, v18, v11
	v_add_nc_u32_e32 v14, 0xfffffc10, v14
	v_cmp_gt_i32_e32 vcc_lo, 1, v12
	v_lshl_or_b32 v16, v14, 12, v9
	s_wait_alu 0xfffd
	v_cndmask_b32_e32 v13, v15, v13, vcc_lo
	v_cmp_gt_i32_e32 vcc_lo, 1, v14
	s_delay_alu instid0(VALU_DEP_2)
	v_and_b32_e32 v15, 7, v13
	s_wait_alu 0xfffd
	v_cndmask_b32_e32 v11, v16, v11, vcc_lo
	v_cmp_ne_u32_e32 vcc_lo, 0, v7
	v_lshrrev_b32_e32 v13, 2, v13
	v_cmp_eq_u32_e64 s0, 3, v15
	s_wait_alu 0xfffd
	v_cndmask_b32_e64 v7, 0, 1, vcc_lo
	v_cmp_ne_u32_e32 vcc_lo, 0, v9
	s_delay_alu instid0(VALU_DEP_2) | instskip(SKIP_3) | instid1(VALU_DEP_2)
	v_lshl_or_b32 v7, v7, 9, 0x7c00
	s_wait_alu 0xfffd
	v_cndmask_b32_e64 v9, 0, 1, vcc_lo
	v_cmp_lt_i32_e32 vcc_lo, 5, v15
	v_lshl_or_b32 v9, v9, 9, 0x7c00
	s_or_b32 vcc_lo, s0, vcc_lo
	s_mul_i32 s0, s5, 0xffffe994
	s_wait_alu 0xfffe
	v_add_co_ci_u32_e32 v13, vcc_lo, 0, v13, vcc_lo
	v_and_b32_e32 v16, 7, v11
	v_lshrrev_b32_e32 v11, 2, v11
	s_sub_co_i32 s0, s0, s4
	s_wait_alu 0xfffe
	v_add_nc_u32_e32 v1, s0, v1
	v_cmp_lt_i32_e64 s1, 5, v16
	v_cmp_eq_u32_e64 s2, 3, v16
	s_delay_alu instid0(VALU_DEP_1)
	s_or_b32 vcc_lo, s2, s1
	s_wait_alu 0xfffe
	v_add_co_ci_u32_e32 v11, vcc_lo, 0, v11, vcc_lo
	v_cmp_gt_i32_e32 vcc_lo, 31, v12
	s_wait_alu 0xfffd
	v_cndmask_b32_e32 v13, 0x7c00, v13, vcc_lo
	v_cmp_gt_i32_e32 vcc_lo, 31, v14
	s_wait_alu 0xfffd
	v_cndmask_b32_e32 v11, 0x7c00, v11, vcc_lo
	v_cmp_eq_u32_e32 vcc_lo, 0x40f, v12
	s_wait_alu 0xfffd
	v_cndmask_b32_e32 v7, v13, v7, vcc_lo
	v_cmp_eq_u32_e32 vcc_lo, 0x40f, v14
	s_delay_alu instid0(VALU_DEP_2) | instskip(SKIP_2) | instid1(VALU_DEP_2)
	v_and_or_b32 v7, 0x8000, v8, v7
	s_wait_alu 0xfffd
	v_cndmask_b32_e32 v9, v11, v9, vcc_lo
	v_and_b32_e32 v7, 0xffff, v7
	s_delay_alu instid0(VALU_DEP_2) | instskip(NEXT) | instid1(VALU_DEP_1)
	v_and_or_b32 v8, 0x8000, v10, v9
	v_lshl_or_b32 v7, v8, 16, v7
	global_store_b32 v[0:1], v7, off
	global_load_b32 v9, v[56:57], off offset:760
	ds_load_2addr_b32 v[7:8], v2 offset0:62 offset1:187
	s_wait_dscnt 0x0
	v_lshrrev_b32_e32 v2, 16, v7
	s_wait_loadcnt 0x0
	v_lshrrev_b32_e32 v10, 16, v9
	s_delay_alu instid0(VALU_DEP_1) | instskip(SKIP_1) | instid1(VALU_DEP_2)
	v_mul_f16_e32 v11, v2, v10
	v_mul_f16_e32 v10, v7, v10
	v_fmac_f16_e32 v11, v7, v9
	s_delay_alu instid0(VALU_DEP_2) | instskip(NEXT) | instid1(VALU_DEP_2)
	v_fma_f16 v2, v9, v2, -v10
	v_cvt_f32_f16_e32 v7, v11
	s_delay_alu instid0(VALU_DEP_2) | instskip(NEXT) | instid1(VALU_DEP_2)
	v_cvt_f32_f16_e32 v2, v2
	v_cvt_f64_f32_e32 v[9:10], v7
	s_delay_alu instid0(VALU_DEP_2) | instskip(NEXT) | instid1(VALU_DEP_2)
	v_cvt_f64_f32_e32 v[11:12], v2
	v_mul_f64_e32 v[9:10], s[8:9], v[9:10]
	s_delay_alu instid0(VALU_DEP_2) | instskip(NEXT) | instid1(VALU_DEP_2)
	v_mul_f64_e32 v[11:12], s[8:9], v[11:12]
	v_and_or_b32 v2, 0x1ff, v10, v9
	s_delay_alu instid0(VALU_DEP_2)
	v_and_or_b32 v11, 0x1ff, v12, v11
	v_lshrrev_b32_e32 v7, 8, v10
	v_bfe_u32 v9, v10, 20, 11
	v_lshrrev_b32_e32 v13, 8, v12
	v_cmp_ne_u32_e32 vcc_lo, 0, v2
	v_bfe_u32 v14, v12, 20, 11
	v_lshrrev_b32_e32 v10, 16, v10
	v_sub_nc_u32_e32 v15, 0x3f1, v9
	v_add_nc_u32_e32 v9, 0xfffffc10, v9
	s_wait_alu 0xfffd
	v_cndmask_b32_e64 v2, 0, 1, vcc_lo
	v_cmp_ne_u32_e32 vcc_lo, 0, v11
	s_delay_alu instid0(VALU_DEP_2) | instskip(SKIP_4) | instid1(VALU_DEP_3)
	v_and_or_b32 v2, 0xffe, v7, v2
	s_wait_alu 0xfffd
	v_cndmask_b32_e64 v11, 0, 1, vcc_lo
	v_sub_nc_u32_e32 v7, 0x3f1, v14
	v_add_nc_u32_e32 v14, 0xfffffc10, v14
	v_and_or_b32 v11, 0xffe, v13, v11
	v_med3_i32 v13, v15, 0, 13
	v_or_b32_e32 v15, 0x1000, v2
	v_med3_i32 v7, v7, 0, 13
	s_delay_alu instid0(VALU_DEP_4) | instskip(NEXT) | instid1(VALU_DEP_3)
	v_or_b32_e32 v16, 0x1000, v11
	v_lshrrev_b32_e32 v17, v13, v15
	s_delay_alu instid0(VALU_DEP_2) | instskip(NEXT) | instid1(VALU_DEP_2)
	v_lshrrev_b32_e32 v18, v7, v16
	v_lshlrev_b32_e32 v13, v13, v17
	s_delay_alu instid0(VALU_DEP_2) | instskip(NEXT) | instid1(VALU_DEP_2)
	v_lshlrev_b32_e32 v7, v7, v18
	v_cmp_ne_u32_e32 vcc_lo, v13, v15
	v_lshl_or_b32 v15, v9, 12, v2
	s_wait_alu 0xfffd
	v_cndmask_b32_e64 v13, 0, 1, vcc_lo
	v_cmp_ne_u32_e32 vcc_lo, v7, v16
	v_lshl_or_b32 v16, v14, 12, v11
	s_delay_alu instid0(VALU_DEP_3) | instskip(SKIP_3) | instid1(VALU_DEP_2)
	v_or_b32_e32 v13, v17, v13
	s_wait_alu 0xfffd
	v_cndmask_b32_e64 v7, 0, 1, vcc_lo
	v_cmp_gt_i32_e32 vcc_lo, 1, v9
	v_or_b32_e32 v7, v18, v7
	s_wait_alu 0xfffd
	v_cndmask_b32_e32 v13, v15, v13, vcc_lo
	v_cmp_gt_i32_e32 vcc_lo, 1, v14
	s_delay_alu instid0(VALU_DEP_2)
	v_and_b32_e32 v15, 7, v13
	s_wait_alu 0xfffd
	v_cndmask_b32_e32 v7, v16, v7, vcc_lo
	v_cmp_ne_u32_e32 vcc_lo, 0, v2
	v_lshrrev_b32_e32 v13, 2, v13
	v_cmp_eq_u32_e64 s0, 3, v15
	s_delay_alu instid0(VALU_DEP_4)
	v_and_b32_e32 v16, 7, v7
	s_wait_alu 0xfffd
	v_cndmask_b32_e64 v2, 0, 1, vcc_lo
	v_cmp_ne_u32_e32 vcc_lo, 0, v11
	v_lshrrev_b32_e32 v7, 2, v7
	v_cmp_lt_i32_e64 s1, 5, v16
	v_cmp_eq_u32_e64 s2, 3, v16
	s_wait_alu 0xfffd
	v_cndmask_b32_e64 v11, 0, 1, vcc_lo
	v_cmp_lt_i32_e32 vcc_lo, 5, v15
	v_lshl_or_b32 v2, v2, 9, 0x7c00
	s_delay_alu instid0(VALU_DEP_3)
	v_lshl_or_b32 v11, v11, 9, 0x7c00
	s_or_b32 vcc_lo, s0, vcc_lo
	s_wait_alu 0xfffe
	v_add_co_ci_u32_e32 v13, vcc_lo, 0, v13, vcc_lo
	s_or_b32 vcc_lo, s2, s1
	s_wait_alu 0xfffe
	v_add_co_ci_u32_e32 v7, vcc_lo, 0, v7, vcc_lo
	v_cmp_gt_i32_e32 vcc_lo, 31, v9
	s_wait_alu 0xfffd
	v_cndmask_b32_e32 v13, 0x7c00, v13, vcc_lo
	v_cmp_gt_i32_e32 vcc_lo, 31, v14
	s_wait_alu 0xfffd
	v_cndmask_b32_e32 v7, 0x7c00, v7, vcc_lo
	v_cmp_eq_u32_e32 vcc_lo, 0x40f, v9
	v_lshrrev_b32_e32 v9, 16, v12
	s_wait_alu 0xfffd
	v_cndmask_b32_e32 v2, v13, v2, vcc_lo
	v_cmp_eq_u32_e32 vcc_lo, 0x40f, v14
	s_delay_alu instid0(VALU_DEP_2)
	v_and_or_b32 v2, 0x8000, v10, v2
	s_wait_alu 0xfffd
	v_cndmask_b32_e32 v7, v7, v11, vcc_lo
	v_add_co_u32 v0, vcc_lo, v0, s6
	s_wait_alu 0xfffd
	v_add_co_ci_u32_e32 v1, vcc_lo, s7, v1, vcc_lo
	s_delay_alu instid0(VALU_DEP_3) | instskip(SKIP_1) | instid1(VALU_DEP_1)
	v_and_or_b32 v7, 0x8000, v9, v7
	v_and_b32_e32 v2, 0xffff, v2
	v_lshl_or_b32 v2, v7, 16, v2
	v_lshrrev_b32_e32 v7, 16, v8
	global_store_b32 v[0:1], v2, off
	global_load_b32 v2, v[56:57], off offset:1260
	s_wait_loadcnt 0x0
	v_lshrrev_b32_e32 v9, 16, v2
	s_delay_alu instid0(VALU_DEP_1) | instskip(SKIP_1) | instid1(VALU_DEP_2)
	v_mul_f16_e32 v10, v7, v9
	v_mul_f16_e32 v9, v8, v9
	v_fmac_f16_e32 v10, v8, v2
	s_delay_alu instid0(VALU_DEP_2) | instskip(NEXT) | instid1(VALU_DEP_2)
	v_fma_f16 v2, v2, v7, -v9
	v_cvt_f32_f16_e32 v7, v10
	s_delay_alu instid0(VALU_DEP_2) | instskip(NEXT) | instid1(VALU_DEP_2)
	v_cvt_f32_f16_e32 v2, v2
	v_cvt_f64_f32_e32 v[7:8], v7
	s_delay_alu instid0(VALU_DEP_2) | instskip(NEXT) | instid1(VALU_DEP_2)
	v_cvt_f64_f32_e32 v[9:10], v2
	v_mul_f64_e32 v[7:8], s[8:9], v[7:8]
	s_delay_alu instid0(VALU_DEP_2) | instskip(NEXT) | instid1(VALU_DEP_2)
	v_mul_f64_e32 v[9:10], s[8:9], v[9:10]
	v_and_or_b32 v2, 0x1ff, v8, v7
	s_delay_alu instid0(VALU_DEP_2)
	v_and_or_b32 v9, 0x1ff, v10, v9
	v_lshrrev_b32_e32 v7, 8, v8
	v_bfe_u32 v11, v8, 20, 11
	v_lshrrev_b32_e32 v12, 8, v10
	v_cmp_ne_u32_e32 vcc_lo, 0, v2
	v_bfe_u32 v13, v10, 20, 11
	v_lshrrev_b32_e32 v8, 16, v8
	v_sub_nc_u32_e32 v14, 0x3f1, v11
	v_add_nc_u32_e32 v11, 0xfffffc10, v11
	s_wait_alu 0xfffd
	v_cndmask_b32_e64 v2, 0, 1, vcc_lo
	v_cmp_ne_u32_e32 vcc_lo, 0, v9
	v_lshrrev_b32_e32 v10, 16, v10
	s_delay_alu instid0(VALU_DEP_3) | instskip(SKIP_4) | instid1(VALU_DEP_3)
	v_and_or_b32 v2, 0xffe, v7, v2
	s_wait_alu 0xfffd
	v_cndmask_b32_e64 v9, 0, 1, vcc_lo
	v_sub_nc_u32_e32 v7, 0x3f1, v13
	v_add_nc_u32_e32 v13, 0xfffffc10, v13
	v_and_or_b32 v9, 0xffe, v12, v9
	v_med3_i32 v12, v14, 0, 13
	v_or_b32_e32 v14, 0x1000, v2
	v_med3_i32 v7, v7, 0, 13
	s_delay_alu instid0(VALU_DEP_4) | instskip(NEXT) | instid1(VALU_DEP_3)
	v_or_b32_e32 v15, 0x1000, v9
	v_lshrrev_b32_e32 v16, v12, v14
	s_delay_alu instid0(VALU_DEP_2) | instskip(NEXT) | instid1(VALU_DEP_2)
	v_lshrrev_b32_e32 v17, v7, v15
	v_lshlrev_b32_e32 v12, v12, v16
	s_delay_alu instid0(VALU_DEP_2) | instskip(NEXT) | instid1(VALU_DEP_2)
	v_lshlrev_b32_e32 v7, v7, v17
	v_cmp_ne_u32_e32 vcc_lo, v12, v14
	v_lshl_or_b32 v14, v11, 12, v2
	s_wait_alu 0xfffd
	v_cndmask_b32_e64 v12, 0, 1, vcc_lo
	v_cmp_ne_u32_e32 vcc_lo, v7, v15
	v_lshl_or_b32 v15, v13, 12, v9
	s_delay_alu instid0(VALU_DEP_3) | instskip(SKIP_3) | instid1(VALU_DEP_2)
	v_or_b32_e32 v12, v16, v12
	s_wait_alu 0xfffd
	v_cndmask_b32_e64 v7, 0, 1, vcc_lo
	v_cmp_gt_i32_e32 vcc_lo, 1, v11
	v_or_b32_e32 v7, v17, v7
	s_wait_alu 0xfffd
	v_cndmask_b32_e32 v12, v14, v12, vcc_lo
	v_cmp_gt_i32_e32 vcc_lo, 1, v13
	s_wait_alu 0xfffd
	s_delay_alu instid0(VALU_DEP_2) | instskip(SKIP_2) | instid1(VALU_DEP_3)
	v_dual_cndmask_b32 v7, v15, v7 :: v_dual_and_b32 v14, 7, v12
	v_cmp_ne_u32_e32 vcc_lo, 0, v2
	v_lshrrev_b32_e32 v12, 2, v12
	v_cmp_eq_u32_e64 s0, 3, v14
	s_delay_alu instid0(VALU_DEP_4)
	v_and_b32_e32 v15, 7, v7
	s_wait_alu 0xfffd
	v_cndmask_b32_e64 v2, 0, 1, vcc_lo
	v_cmp_ne_u32_e32 vcc_lo, 0, v9
	v_lshrrev_b32_e32 v7, 2, v7
	v_cmp_lt_i32_e64 s1, 5, v15
	v_cmp_eq_u32_e64 s2, 3, v15
	s_wait_alu 0xfffd
	v_cndmask_b32_e64 v9, 0, 1, vcc_lo
	v_cmp_lt_i32_e32 vcc_lo, 5, v14
	v_lshl_or_b32 v2, v2, 9, 0x7c00
	s_delay_alu instid0(VALU_DEP_3)
	v_lshl_or_b32 v9, v9, 9, 0x7c00
	s_or_b32 vcc_lo, s0, vcc_lo
	s_wait_alu 0xfffe
	v_add_co_ci_u32_e32 v12, vcc_lo, 0, v12, vcc_lo
	s_or_b32 vcc_lo, s2, s1
	s_wait_alu 0xfffe
	v_add_co_ci_u32_e32 v7, vcc_lo, 0, v7, vcc_lo
	v_cmp_gt_i32_e32 vcc_lo, 31, v11
	s_wait_alu 0xfffd
	v_cndmask_b32_e32 v12, 0x7c00, v12, vcc_lo
	v_cmp_gt_i32_e32 vcc_lo, 31, v13
	s_wait_alu 0xfffd
	v_cndmask_b32_e32 v7, 0x7c00, v7, vcc_lo
	v_cmp_eq_u32_e32 vcc_lo, 0x40f, v11
	s_wait_alu 0xfffd
	v_cndmask_b32_e32 v2, v12, v2, vcc_lo
	v_cmp_eq_u32_e32 vcc_lo, 0x40f, v13
	s_delay_alu instid0(VALU_DEP_2)
	v_and_or_b32 v2, 0x8000, v8, v2
	s_wait_alu 0xfffd
	v_cndmask_b32_e32 v7, v7, v9, vcc_lo
	v_add_co_u32 v0, vcc_lo, v0, s6
	s_wait_alu 0xfffd
	v_add_co_ci_u32_e32 v1, vcc_lo, s7, v1, vcc_lo
	s_delay_alu instid0(VALU_DEP_3) | instskip(SKIP_1) | instid1(VALU_DEP_1)
	v_and_or_b32 v7, 0x8000, v10, v7
	v_and_b32_e32 v2, 0xffff, v2
	v_lshl_or_b32 v2, v7, 16, v2
	global_store_b32 v[0:1], v2, off
	global_load_b32 v7, v[56:57], off offset:1760
	ds_load_2addr_b32 v[2:3], v3 offset0:56 offset1:181
	s_wait_dscnt 0x0
	v_lshrrev_b32_e32 v8, 16, v2
	s_wait_loadcnt 0x0
	v_lshrrev_b32_e32 v9, 16, v7
	s_delay_alu instid0(VALU_DEP_1) | instskip(SKIP_1) | instid1(VALU_DEP_2)
	v_mul_f16_e32 v10, v8, v9
	v_mul_f16_e32 v9, v2, v9
	v_fmac_f16_e32 v10, v2, v7
	s_delay_alu instid0(VALU_DEP_2) | instskip(NEXT) | instid1(VALU_DEP_2)
	v_fma_f16 v2, v7, v8, -v9
	v_cvt_f32_f16_e32 v7, v10
	s_delay_alu instid0(VALU_DEP_2) | instskip(NEXT) | instid1(VALU_DEP_2)
	v_cvt_f32_f16_e32 v2, v2
	v_cvt_f64_f32_e32 v[7:8], v7
	s_delay_alu instid0(VALU_DEP_2) | instskip(NEXT) | instid1(VALU_DEP_2)
	v_cvt_f64_f32_e32 v[9:10], v2
	v_mul_f64_e32 v[7:8], s[8:9], v[7:8]
	s_delay_alu instid0(VALU_DEP_2) | instskip(NEXT) | instid1(VALU_DEP_2)
	v_mul_f64_e32 v[9:10], s[8:9], v[9:10]
	v_and_or_b32 v2, 0x1ff, v8, v7
	s_delay_alu instid0(VALU_DEP_2)
	v_and_or_b32 v9, 0x1ff, v10, v9
	v_lshrrev_b32_e32 v7, 8, v8
	v_bfe_u32 v11, v8, 20, 11
	v_lshrrev_b32_e32 v12, 8, v10
	v_cmp_ne_u32_e32 vcc_lo, 0, v2
	v_bfe_u32 v13, v10, 20, 11
	v_lshrrev_b32_e32 v8, 16, v8
	v_sub_nc_u32_e32 v14, 0x3f1, v11
	v_add_nc_u32_e32 v11, 0xfffffc10, v11
	s_wait_alu 0xfffd
	v_cndmask_b32_e64 v2, 0, 1, vcc_lo
	v_cmp_ne_u32_e32 vcc_lo, 0, v9
	v_lshrrev_b32_e32 v10, 16, v10
	s_delay_alu instid0(VALU_DEP_3) | instskip(SKIP_4) | instid1(VALU_DEP_3)
	v_and_or_b32 v2, 0xffe, v7, v2
	s_wait_alu 0xfffd
	v_cndmask_b32_e64 v9, 0, 1, vcc_lo
	v_sub_nc_u32_e32 v7, 0x3f1, v13
	v_add_nc_u32_e32 v13, 0xfffffc10, v13
	v_and_or_b32 v9, 0xffe, v12, v9
	v_med3_i32 v12, v14, 0, 13
	v_or_b32_e32 v14, 0x1000, v2
	v_med3_i32 v7, v7, 0, 13
	s_delay_alu instid0(VALU_DEP_4) | instskip(NEXT) | instid1(VALU_DEP_3)
	v_or_b32_e32 v15, 0x1000, v9
	v_lshrrev_b32_e32 v16, v12, v14
	s_delay_alu instid0(VALU_DEP_2) | instskip(NEXT) | instid1(VALU_DEP_2)
	v_lshrrev_b32_e32 v17, v7, v15
	v_lshlrev_b32_e32 v12, v12, v16
	s_delay_alu instid0(VALU_DEP_2) | instskip(NEXT) | instid1(VALU_DEP_2)
	v_lshlrev_b32_e32 v7, v7, v17
	v_cmp_ne_u32_e32 vcc_lo, v12, v14
	v_lshl_or_b32 v14, v11, 12, v2
	s_wait_alu 0xfffd
	v_cndmask_b32_e64 v12, 0, 1, vcc_lo
	v_cmp_ne_u32_e32 vcc_lo, v7, v15
	v_lshl_or_b32 v15, v13, 12, v9
	s_delay_alu instid0(VALU_DEP_3) | instskip(SKIP_3) | instid1(VALU_DEP_2)
	v_or_b32_e32 v12, v16, v12
	s_wait_alu 0xfffd
	v_cndmask_b32_e64 v7, 0, 1, vcc_lo
	v_cmp_gt_i32_e32 vcc_lo, 1, v11
	v_or_b32_e32 v7, v17, v7
	s_wait_alu 0xfffd
	v_cndmask_b32_e32 v12, v14, v12, vcc_lo
	v_cmp_gt_i32_e32 vcc_lo, 1, v13
	s_wait_alu 0xfffd
	s_delay_alu instid0(VALU_DEP_2) | instskip(SKIP_2) | instid1(VALU_DEP_3)
	v_dual_cndmask_b32 v7, v15, v7 :: v_dual_and_b32 v14, 7, v12
	v_cmp_ne_u32_e32 vcc_lo, 0, v2
	v_lshrrev_b32_e32 v12, 2, v12
	v_cmp_eq_u32_e64 s0, 3, v14
	s_delay_alu instid0(VALU_DEP_4)
	v_and_b32_e32 v15, 7, v7
	s_wait_alu 0xfffd
	v_cndmask_b32_e64 v2, 0, 1, vcc_lo
	v_cmp_ne_u32_e32 vcc_lo, 0, v9
	v_lshrrev_b32_e32 v7, 2, v7
	v_cmp_lt_i32_e64 s1, 5, v15
	v_cmp_eq_u32_e64 s2, 3, v15
	s_wait_alu 0xfffd
	v_cndmask_b32_e64 v9, 0, 1, vcc_lo
	v_cmp_lt_i32_e32 vcc_lo, 5, v14
	v_lshl_or_b32 v2, v2, 9, 0x7c00
	s_delay_alu instid0(VALU_DEP_3)
	v_lshl_or_b32 v9, v9, 9, 0x7c00
	s_or_b32 vcc_lo, s0, vcc_lo
	s_wait_alu 0xfffe
	v_add_co_ci_u32_e32 v12, vcc_lo, 0, v12, vcc_lo
	s_or_b32 vcc_lo, s2, s1
	s_wait_alu 0xfffe
	v_add_co_ci_u32_e32 v7, vcc_lo, 0, v7, vcc_lo
	v_cmp_gt_i32_e32 vcc_lo, 31, v11
	s_wait_alu 0xfffd
	v_cndmask_b32_e32 v12, 0x7c00, v12, vcc_lo
	v_cmp_gt_i32_e32 vcc_lo, 31, v13
	s_wait_alu 0xfffd
	v_cndmask_b32_e32 v7, 0x7c00, v7, vcc_lo
	v_cmp_eq_u32_e32 vcc_lo, 0x40f, v11
	s_wait_alu 0xfffd
	v_cndmask_b32_e32 v2, v12, v2, vcc_lo
	v_cmp_eq_u32_e32 vcc_lo, 0x40f, v13
	s_delay_alu instid0(VALU_DEP_2)
	v_and_or_b32 v2, 0x8000, v8, v2
	s_wait_alu 0xfffd
	v_cndmask_b32_e32 v7, v7, v9, vcc_lo
	v_add_co_u32 v0, vcc_lo, v0, s6
	s_wait_alu 0xfffd
	v_add_co_ci_u32_e32 v1, vcc_lo, s7, v1, vcc_lo
	s_delay_alu instid0(VALU_DEP_3) | instskip(SKIP_1) | instid1(VALU_DEP_1)
	v_and_or_b32 v7, 0x8000, v10, v7
	v_and_b32_e32 v2, 0xffff, v2
	v_lshl_or_b32 v2, v7, 16, v2
	v_lshrrev_b32_e32 v7, 16, v3
	global_store_b32 v[0:1], v2, off
	global_load_b32 v2, v[56:57], off offset:2260
	s_wait_loadcnt 0x0
	v_lshrrev_b32_e32 v8, 16, v2
	s_delay_alu instid0(VALU_DEP_1) | instskip(SKIP_1) | instid1(VALU_DEP_2)
	v_mul_f16_e32 v9, v7, v8
	v_mul_f16_e32 v8, v3, v8
	v_fmac_f16_e32 v9, v3, v2
	s_delay_alu instid0(VALU_DEP_2) | instskip(NEXT) | instid1(VALU_DEP_2)
	v_fma_f16 v2, v2, v7, -v8
	v_cvt_f32_f16_e32 v3, v9
	s_delay_alu instid0(VALU_DEP_2) | instskip(NEXT) | instid1(VALU_DEP_2)
	v_cvt_f32_f16_e32 v7, v2
	v_cvt_f64_f32_e32 v[2:3], v3
	s_delay_alu instid0(VALU_DEP_2) | instskip(NEXT) | instid1(VALU_DEP_2)
	v_cvt_f64_f32_e32 v[7:8], v7
	v_mul_f64_e32 v[2:3], s[8:9], v[2:3]
	s_delay_alu instid0(VALU_DEP_2) | instskip(NEXT) | instid1(VALU_DEP_2)
	v_mul_f64_e32 v[7:8], s[8:9], v[7:8]
	v_and_or_b32 v2, 0x1ff, v3, v2
	s_delay_alu instid0(VALU_DEP_2)
	v_and_or_b32 v7, 0x1ff, v8, v7
	v_lshrrev_b32_e32 v9, 8, v3
	v_bfe_u32 v10, v3, 20, 11
	v_lshrrev_b32_e32 v11, 8, v8
	v_cmp_ne_u32_e32 vcc_lo, 0, v2
	v_bfe_u32 v12, v8, 20, 11
	v_lshrrev_b32_e32 v3, 16, v3
	v_sub_nc_u32_e32 v13, 0x3f1, v10
	v_add_nc_u32_e32 v10, 0xfffffc10, v10
	s_wait_alu 0xfffd
	v_cndmask_b32_e64 v2, 0, 1, vcc_lo
	v_cmp_ne_u32_e32 vcc_lo, 0, v7
	v_lshrrev_b32_e32 v8, 16, v8
	s_delay_alu instid0(VALU_DEP_3) | instskip(SKIP_4) | instid1(VALU_DEP_3)
	v_and_or_b32 v2, 0xffe, v9, v2
	s_wait_alu 0xfffd
	v_cndmask_b32_e64 v7, 0, 1, vcc_lo
	v_sub_nc_u32_e32 v9, 0x3f1, v12
	v_add_nc_u32_e32 v12, 0xfffffc10, v12
	v_and_or_b32 v7, 0xffe, v11, v7
	v_med3_i32 v11, v13, 0, 13
	v_or_b32_e32 v13, 0x1000, v2
	v_med3_i32 v9, v9, 0, 13
	s_delay_alu instid0(VALU_DEP_4) | instskip(NEXT) | instid1(VALU_DEP_3)
	v_or_b32_e32 v14, 0x1000, v7
	v_lshrrev_b32_e32 v15, v11, v13
	s_delay_alu instid0(VALU_DEP_2) | instskip(NEXT) | instid1(VALU_DEP_2)
	v_lshrrev_b32_e32 v16, v9, v14
	v_lshlrev_b32_e32 v11, v11, v15
	s_delay_alu instid0(VALU_DEP_2) | instskip(NEXT) | instid1(VALU_DEP_2)
	v_lshlrev_b32_e32 v9, v9, v16
	v_cmp_ne_u32_e32 vcc_lo, v11, v13
	v_lshl_or_b32 v13, v10, 12, v2
	s_wait_alu 0xfffd
	v_cndmask_b32_e64 v11, 0, 1, vcc_lo
	v_cmp_ne_u32_e32 vcc_lo, v9, v14
	v_lshl_or_b32 v14, v12, 12, v7
	s_delay_alu instid0(VALU_DEP_3) | instskip(SKIP_3) | instid1(VALU_DEP_2)
	v_or_b32_e32 v11, v15, v11
	s_wait_alu 0xfffd
	v_cndmask_b32_e64 v9, 0, 1, vcc_lo
	v_cmp_gt_i32_e32 vcc_lo, 1, v10
	v_or_b32_e32 v9, v16, v9
	s_wait_alu 0xfffd
	v_cndmask_b32_e32 v11, v13, v11, vcc_lo
	v_cmp_gt_i32_e32 vcc_lo, 1, v12
	s_delay_alu instid0(VALU_DEP_2)
	v_and_b32_e32 v13, 7, v11
	s_wait_alu 0xfffd
	v_cndmask_b32_e32 v9, v14, v9, vcc_lo
	v_cmp_ne_u32_e32 vcc_lo, 0, v2
	v_lshrrev_b32_e32 v11, 2, v11
	v_cmp_eq_u32_e64 s0, 3, v13
	s_delay_alu instid0(VALU_DEP_4)
	v_and_b32_e32 v14, 7, v9
	s_wait_alu 0xfffd
	v_cndmask_b32_e64 v2, 0, 1, vcc_lo
	v_cmp_ne_u32_e32 vcc_lo, 0, v7
	v_lshrrev_b32_e32 v9, 2, v9
	v_cmp_lt_i32_e64 s1, 5, v14
	v_cmp_eq_u32_e64 s2, 3, v14
	s_wait_alu 0xfffd
	v_cndmask_b32_e64 v7, 0, 1, vcc_lo
	v_cmp_lt_i32_e32 vcc_lo, 5, v13
	v_lshl_or_b32 v2, v2, 9, 0x7c00
	s_delay_alu instid0(VALU_DEP_3)
	v_lshl_or_b32 v7, v7, 9, 0x7c00
	s_or_b32 vcc_lo, s0, vcc_lo
	s_wait_alu 0xfffe
	v_add_co_ci_u32_e32 v11, vcc_lo, 0, v11, vcc_lo
	s_or_b32 vcc_lo, s2, s1
	s_wait_alu 0xfffe
	v_add_co_ci_u32_e32 v9, vcc_lo, 0, v9, vcc_lo
	v_cmp_gt_i32_e32 vcc_lo, 31, v10
	s_wait_alu 0xfffd
	v_cndmask_b32_e32 v11, 0x7c00, v11, vcc_lo
	v_cmp_gt_i32_e32 vcc_lo, 31, v12
	s_wait_alu 0xfffd
	v_cndmask_b32_e32 v9, 0x7c00, v9, vcc_lo
	v_cmp_eq_u32_e32 vcc_lo, 0x40f, v10
	s_wait_alu 0xfffd
	v_cndmask_b32_e32 v2, v11, v2, vcc_lo
	v_cmp_eq_u32_e32 vcc_lo, 0x40f, v12
	s_delay_alu instid0(VALU_DEP_2)
	v_and_or_b32 v2, 0x8000, v3, v2
	s_wait_alu 0xfffd
	v_cndmask_b32_e32 v7, v9, v7, vcc_lo
	v_add_co_u32 v0, vcc_lo, v0, s6
	s_wait_alu 0xfffd
	v_add_co_ci_u32_e32 v1, vcc_lo, s7, v1, vcc_lo
	s_delay_alu instid0(VALU_DEP_3) | instskip(SKIP_1) | instid1(VALU_DEP_1)
	v_and_or_b32 v3, 0x8000, v8, v7
	v_and_b32_e32 v2, 0xffff, v2
	v_lshl_or_b32 v2, v3, 16, v2
	global_store_b32 v[0:1], v2, off
	global_load_b32 v7, v[56:57], off offset:2760
	ds_load_2addr_b32 v[2:3], v4 offset0:50 offset1:175
	s_wait_dscnt 0x0
	v_lshrrev_b32_e32 v4, 16, v2
	s_wait_loadcnt 0x0
	v_lshrrev_b32_e32 v8, 16, v7
	s_delay_alu instid0(VALU_DEP_1) | instskip(SKIP_1) | instid1(VALU_DEP_2)
	v_mul_f16_e32 v9, v4, v8
	v_mul_f16_e32 v8, v2, v8
	v_fmac_f16_e32 v9, v2, v7
	s_delay_alu instid0(VALU_DEP_2) | instskip(NEXT) | instid1(VALU_DEP_2)
	v_fma_f16 v2, v7, v4, -v8
	v_cvt_f32_f16_e32 v4, v9
	s_delay_alu instid0(VALU_DEP_2) | instskip(NEXT) | instid1(VALU_DEP_2)
	v_cvt_f32_f16_e32 v2, v2
	v_cvt_f64_f32_e32 v[7:8], v4
	s_delay_alu instid0(VALU_DEP_2) | instskip(NEXT) | instid1(VALU_DEP_2)
	v_cvt_f64_f32_e32 v[9:10], v2
	v_mul_f64_e32 v[7:8], s[8:9], v[7:8]
	s_delay_alu instid0(VALU_DEP_2) | instskip(NEXT) | instid1(VALU_DEP_2)
	v_mul_f64_e32 v[9:10], s[8:9], v[9:10]
	v_and_or_b32 v2, 0x1ff, v8, v7
	s_delay_alu instid0(VALU_DEP_2)
	v_and_or_b32 v9, 0x1ff, v10, v9
	v_lshrrev_b32_e32 v4, 8, v8
	v_bfe_u32 v7, v8, 20, 11
	v_lshrrev_b32_e32 v11, 8, v10
	v_cmp_ne_u32_e32 vcc_lo, 0, v2
	v_bfe_u32 v12, v10, 20, 11
	v_lshrrev_b32_e32 v8, 16, v8
	v_sub_nc_u32_e32 v13, 0x3f1, v7
	v_add_nc_u32_e32 v7, 0xfffffc10, v7
	s_wait_alu 0xfffd
	v_cndmask_b32_e64 v2, 0, 1, vcc_lo
	v_cmp_ne_u32_e32 vcc_lo, 0, v9
	s_delay_alu instid0(VALU_DEP_2) | instskip(SKIP_4) | instid1(VALU_DEP_3)
	v_and_or_b32 v2, 0xffe, v4, v2
	s_wait_alu 0xfffd
	v_cndmask_b32_e64 v9, 0, 1, vcc_lo
	v_sub_nc_u32_e32 v4, 0x3f1, v12
	v_add_nc_u32_e32 v12, 0xfffffc10, v12
	v_and_or_b32 v9, 0xffe, v11, v9
	v_med3_i32 v11, v13, 0, 13
	v_or_b32_e32 v13, 0x1000, v2
	v_med3_i32 v4, v4, 0, 13
	s_delay_alu instid0(VALU_DEP_4) | instskip(NEXT) | instid1(VALU_DEP_3)
	v_or_b32_e32 v14, 0x1000, v9
	v_lshrrev_b32_e32 v15, v11, v13
	s_delay_alu instid0(VALU_DEP_2) | instskip(NEXT) | instid1(VALU_DEP_2)
	v_lshrrev_b32_e32 v16, v4, v14
	v_lshlrev_b32_e32 v11, v11, v15
	s_delay_alu instid0(VALU_DEP_2) | instskip(NEXT) | instid1(VALU_DEP_2)
	v_lshlrev_b32_e32 v4, v4, v16
	v_cmp_ne_u32_e32 vcc_lo, v11, v13
	v_lshl_or_b32 v13, v7, 12, v2
	s_wait_alu 0xfffd
	v_cndmask_b32_e64 v11, 0, 1, vcc_lo
	v_cmp_ne_u32_e32 vcc_lo, v4, v14
	v_lshl_or_b32 v14, v12, 12, v9
	s_delay_alu instid0(VALU_DEP_3) | instskip(SKIP_3) | instid1(VALU_DEP_2)
	v_or_b32_e32 v11, v15, v11
	s_wait_alu 0xfffd
	v_cndmask_b32_e64 v4, 0, 1, vcc_lo
	v_cmp_gt_i32_e32 vcc_lo, 1, v7
	v_or_b32_e32 v4, v16, v4
	s_wait_alu 0xfffd
	v_cndmask_b32_e32 v11, v13, v11, vcc_lo
	v_cmp_gt_i32_e32 vcc_lo, 1, v12
	s_wait_alu 0xfffd
	s_delay_alu instid0(VALU_DEP_2) | instskip(SKIP_2) | instid1(VALU_DEP_3)
	v_dual_cndmask_b32 v4, v14, v4 :: v_dual_and_b32 v13, 7, v11
	v_cmp_ne_u32_e32 vcc_lo, 0, v2
	v_lshrrev_b32_e32 v11, 2, v11
	v_cmp_eq_u32_e64 s0, 3, v13
	s_delay_alu instid0(VALU_DEP_4)
	v_and_b32_e32 v14, 7, v4
	s_wait_alu 0xfffd
	v_cndmask_b32_e64 v2, 0, 1, vcc_lo
	v_cmp_ne_u32_e32 vcc_lo, 0, v9
	v_lshrrev_b32_e32 v4, 2, v4
	v_cmp_lt_i32_e64 s1, 5, v14
	v_cmp_eq_u32_e64 s2, 3, v14
	s_wait_alu 0xfffd
	v_cndmask_b32_e64 v9, 0, 1, vcc_lo
	v_cmp_lt_i32_e32 vcc_lo, 5, v13
	v_lshl_or_b32 v2, v2, 9, 0x7c00
	s_delay_alu instid0(VALU_DEP_3)
	v_lshl_or_b32 v9, v9, 9, 0x7c00
	s_or_b32 vcc_lo, s0, vcc_lo
	s_wait_alu 0xfffe
	v_add_co_ci_u32_e32 v11, vcc_lo, 0, v11, vcc_lo
	s_or_b32 vcc_lo, s2, s1
	s_wait_alu 0xfffe
	v_add_co_ci_u32_e32 v4, vcc_lo, 0, v4, vcc_lo
	v_cmp_gt_i32_e32 vcc_lo, 31, v7
	s_wait_alu 0xfffd
	v_cndmask_b32_e32 v11, 0x7c00, v11, vcc_lo
	v_cmp_gt_i32_e32 vcc_lo, 31, v12
	s_wait_alu 0xfffd
	v_cndmask_b32_e32 v4, 0x7c00, v4, vcc_lo
	v_cmp_eq_u32_e32 vcc_lo, 0x40f, v7
	v_lshrrev_b32_e32 v7, 16, v10
	s_wait_alu 0xfffd
	v_cndmask_b32_e32 v2, v11, v2, vcc_lo
	v_cmp_eq_u32_e32 vcc_lo, 0x40f, v12
	s_delay_alu instid0(VALU_DEP_2)
	v_and_or_b32 v2, 0x8000, v8, v2
	s_wait_alu 0xfffd
	v_cndmask_b32_e32 v4, v4, v9, vcc_lo
	v_add_co_u32 v0, vcc_lo, v0, s6
	s_wait_alu 0xfffd
	v_add_co_ci_u32_e32 v1, vcc_lo, s7, v1, vcc_lo
	s_delay_alu instid0(VALU_DEP_3) | instskip(SKIP_1) | instid1(VALU_DEP_1)
	v_and_or_b32 v4, 0x8000, v7, v4
	v_and_b32_e32 v2, 0xffff, v2
	v_lshl_or_b32 v2, v4, 16, v2
	v_lshrrev_b32_e32 v4, 16, v3
	global_store_b32 v[0:1], v2, off
	global_load_b32 v2, v[56:57], off offset:3260
	s_wait_loadcnt 0x0
	v_lshrrev_b32_e32 v7, 16, v2
	s_delay_alu instid0(VALU_DEP_1) | instskip(SKIP_1) | instid1(VALU_DEP_2)
	v_mul_f16_e32 v8, v4, v7
	v_mul_f16_e32 v7, v3, v7
	v_fmac_f16_e32 v8, v3, v2
	s_delay_alu instid0(VALU_DEP_2) | instskip(NEXT) | instid1(VALU_DEP_2)
	v_fma_f16 v2, v2, v4, -v7
	v_cvt_f32_f16_e32 v3, v8
	s_delay_alu instid0(VALU_DEP_2) | instskip(NEXT) | instid1(VALU_DEP_2)
	v_cvt_f32_f16_e32 v4, v2
	v_cvt_f64_f32_e32 v[2:3], v3
	s_delay_alu instid0(VALU_DEP_2) | instskip(NEXT) | instid1(VALU_DEP_2)
	v_cvt_f64_f32_e32 v[7:8], v4
	v_mul_f64_e32 v[2:3], s[8:9], v[2:3]
	s_delay_alu instid0(VALU_DEP_2) | instskip(NEXT) | instid1(VALU_DEP_2)
	v_mul_f64_e32 v[7:8], s[8:9], v[7:8]
	v_and_or_b32 v2, 0x1ff, v3, v2
	s_delay_alu instid0(VALU_DEP_2)
	v_and_or_b32 v7, 0x1ff, v8, v7
	v_lshrrev_b32_e32 v4, 8, v3
	v_bfe_u32 v9, v3, 20, 11
	v_lshrrev_b32_e32 v10, 8, v8
	v_cmp_ne_u32_e32 vcc_lo, 0, v2
	v_bfe_u32 v11, v8, 20, 11
	v_lshrrev_b32_e32 v3, 16, v3
	v_sub_nc_u32_e32 v12, 0x3f1, v9
	v_add_nc_u32_e32 v9, 0xfffffc10, v9
	s_wait_alu 0xfffd
	v_cndmask_b32_e64 v2, 0, 1, vcc_lo
	v_cmp_ne_u32_e32 vcc_lo, 0, v7
	v_lshrrev_b32_e32 v8, 16, v8
	s_delay_alu instid0(VALU_DEP_3) | instskip(SKIP_4) | instid1(VALU_DEP_3)
	v_and_or_b32 v2, 0xffe, v4, v2
	s_wait_alu 0xfffd
	v_cndmask_b32_e64 v7, 0, 1, vcc_lo
	v_sub_nc_u32_e32 v4, 0x3f1, v11
	v_add_nc_u32_e32 v11, 0xfffffc10, v11
	v_and_or_b32 v7, 0xffe, v10, v7
	v_med3_i32 v10, v12, 0, 13
	v_or_b32_e32 v12, 0x1000, v2
	v_med3_i32 v4, v4, 0, 13
	s_delay_alu instid0(VALU_DEP_4) | instskip(NEXT) | instid1(VALU_DEP_3)
	v_or_b32_e32 v13, 0x1000, v7
	v_lshrrev_b32_e32 v14, v10, v12
	s_delay_alu instid0(VALU_DEP_2) | instskip(NEXT) | instid1(VALU_DEP_2)
	v_lshrrev_b32_e32 v15, v4, v13
	v_lshlrev_b32_e32 v10, v10, v14
	s_delay_alu instid0(VALU_DEP_2) | instskip(NEXT) | instid1(VALU_DEP_2)
	v_lshlrev_b32_e32 v4, v4, v15
	v_cmp_ne_u32_e32 vcc_lo, v10, v12
	v_lshl_or_b32 v12, v9, 12, v2
	s_wait_alu 0xfffd
	v_cndmask_b32_e64 v10, 0, 1, vcc_lo
	v_cmp_ne_u32_e32 vcc_lo, v4, v13
	v_lshl_or_b32 v13, v11, 12, v7
	s_delay_alu instid0(VALU_DEP_3) | instskip(SKIP_3) | instid1(VALU_DEP_2)
	v_or_b32_e32 v10, v14, v10
	s_wait_alu 0xfffd
	v_cndmask_b32_e64 v4, 0, 1, vcc_lo
	v_cmp_gt_i32_e32 vcc_lo, 1, v9
	v_or_b32_e32 v4, v15, v4
	s_wait_alu 0xfffd
	v_cndmask_b32_e32 v10, v12, v10, vcc_lo
	v_cmp_gt_i32_e32 vcc_lo, 1, v11
	s_delay_alu instid0(VALU_DEP_2)
	v_and_b32_e32 v12, 7, v10
	s_wait_alu 0xfffd
	v_cndmask_b32_e32 v4, v13, v4, vcc_lo
	v_cmp_ne_u32_e32 vcc_lo, 0, v2
	v_lshrrev_b32_e32 v10, 2, v10
	v_cmp_eq_u32_e64 s0, 3, v12
	s_delay_alu instid0(VALU_DEP_4)
	v_and_b32_e32 v13, 7, v4
	s_wait_alu 0xfffd
	v_cndmask_b32_e64 v2, 0, 1, vcc_lo
	v_cmp_ne_u32_e32 vcc_lo, 0, v7
	v_lshrrev_b32_e32 v4, 2, v4
	v_cmp_lt_i32_e64 s1, 5, v13
	v_cmp_eq_u32_e64 s2, 3, v13
	s_wait_alu 0xfffd
	v_cndmask_b32_e64 v7, 0, 1, vcc_lo
	v_cmp_lt_i32_e32 vcc_lo, 5, v12
	v_lshl_or_b32 v2, v2, 9, 0x7c00
	s_delay_alu instid0(VALU_DEP_3)
	v_lshl_or_b32 v7, v7, 9, 0x7c00
	s_or_b32 vcc_lo, s0, vcc_lo
	s_wait_alu 0xfffe
	v_add_co_ci_u32_e32 v10, vcc_lo, 0, v10, vcc_lo
	s_or_b32 vcc_lo, s2, s1
	s_wait_alu 0xfffe
	v_add_co_ci_u32_e32 v4, vcc_lo, 0, v4, vcc_lo
	v_cmp_gt_i32_e32 vcc_lo, 31, v9
	s_wait_alu 0xfffd
	v_cndmask_b32_e32 v10, 0x7c00, v10, vcc_lo
	v_cmp_gt_i32_e32 vcc_lo, 31, v11
	s_wait_alu 0xfffd
	v_cndmask_b32_e32 v4, 0x7c00, v4, vcc_lo
	v_cmp_eq_u32_e32 vcc_lo, 0x40f, v9
	s_wait_alu 0xfffd
	v_cndmask_b32_e32 v2, v10, v2, vcc_lo
	v_cmp_eq_u32_e32 vcc_lo, 0x40f, v11
	s_delay_alu instid0(VALU_DEP_2)
	v_and_or_b32 v2, 0x8000, v3, v2
	s_wait_alu 0xfffd
	v_cndmask_b32_e32 v4, v4, v7, vcc_lo
	v_add_co_u32 v0, vcc_lo, v0, s6
	s_wait_alu 0xfffd
	v_add_co_ci_u32_e32 v1, vcc_lo, s7, v1, vcc_lo
	s_delay_alu instid0(VALU_DEP_3) | instskip(SKIP_1) | instid1(VALU_DEP_1)
	v_and_or_b32 v3, 0x8000, v8, v4
	v_and_b32_e32 v2, 0xffff, v2
	v_lshl_or_b32 v2, v3, 16, v2
	global_store_b32 v[0:1], v2, off
	global_load_b32 v4, v[56:57], off offset:3760
	ds_load_2addr_b32 v[2:3], v5 offset0:44 offset1:169
	s_wait_dscnt 0x0
	v_lshrrev_b32_e32 v5, 16, v2
	s_wait_loadcnt 0x0
	v_lshrrev_b32_e32 v7, 16, v4
	s_delay_alu instid0(VALU_DEP_1) | instskip(SKIP_1) | instid1(VALU_DEP_2)
	v_mul_f16_e32 v8, v5, v7
	v_mul_f16_e32 v7, v2, v7
	v_fmac_f16_e32 v8, v2, v4
	s_delay_alu instid0(VALU_DEP_2) | instskip(NEXT) | instid1(VALU_DEP_2)
	v_fma_f16 v2, v4, v5, -v7
	v_cvt_f32_f16_e32 v4, v8
	s_delay_alu instid0(VALU_DEP_2) | instskip(NEXT) | instid1(VALU_DEP_2)
	v_cvt_f32_f16_e32 v2, v2
	v_cvt_f64_f32_e32 v[4:5], v4
	s_delay_alu instid0(VALU_DEP_2) | instskip(NEXT) | instid1(VALU_DEP_2)
	v_cvt_f64_f32_e32 v[7:8], v2
	v_mul_f64_e32 v[4:5], s[8:9], v[4:5]
	s_delay_alu instid0(VALU_DEP_2) | instskip(NEXT) | instid1(VALU_DEP_2)
	v_mul_f64_e32 v[7:8], s[8:9], v[7:8]
	v_and_or_b32 v2, 0x1ff, v5, v4
	s_delay_alu instid0(VALU_DEP_2)
	v_and_or_b32 v7, 0x1ff, v8, v7
	v_lshrrev_b32_e32 v4, 8, v5
	v_bfe_u32 v9, v5, 20, 11
	v_lshrrev_b32_e32 v10, 8, v8
	v_cmp_ne_u32_e32 vcc_lo, 0, v2
	v_bfe_u32 v11, v8, 20, 11
	v_lshrrev_b32_e32 v5, 16, v5
	v_sub_nc_u32_e32 v12, 0x3f1, v9
	v_add_nc_u32_e32 v9, 0xfffffc10, v9
	s_wait_alu 0xfffd
	v_cndmask_b32_e64 v2, 0, 1, vcc_lo
	v_cmp_ne_u32_e32 vcc_lo, 0, v7
	v_lshrrev_b32_e32 v8, 16, v8
	s_delay_alu instid0(VALU_DEP_3) | instskip(SKIP_4) | instid1(VALU_DEP_3)
	v_and_or_b32 v2, 0xffe, v4, v2
	s_wait_alu 0xfffd
	v_cndmask_b32_e64 v7, 0, 1, vcc_lo
	v_sub_nc_u32_e32 v4, 0x3f1, v11
	v_add_nc_u32_e32 v11, 0xfffffc10, v11
	v_and_or_b32 v7, 0xffe, v10, v7
	v_med3_i32 v10, v12, 0, 13
	v_or_b32_e32 v12, 0x1000, v2
	v_med3_i32 v4, v4, 0, 13
	s_delay_alu instid0(VALU_DEP_4) | instskip(NEXT) | instid1(VALU_DEP_3)
	v_or_b32_e32 v13, 0x1000, v7
	v_lshrrev_b32_e32 v14, v10, v12
	s_delay_alu instid0(VALU_DEP_2) | instskip(NEXT) | instid1(VALU_DEP_2)
	v_lshrrev_b32_e32 v15, v4, v13
	v_lshlrev_b32_e32 v10, v10, v14
	s_delay_alu instid0(VALU_DEP_2) | instskip(NEXT) | instid1(VALU_DEP_2)
	v_lshlrev_b32_e32 v4, v4, v15
	v_cmp_ne_u32_e32 vcc_lo, v10, v12
	v_lshl_or_b32 v12, v9, 12, v2
	s_wait_alu 0xfffd
	v_cndmask_b32_e64 v10, 0, 1, vcc_lo
	v_cmp_ne_u32_e32 vcc_lo, v4, v13
	v_lshl_or_b32 v13, v11, 12, v7
	s_delay_alu instid0(VALU_DEP_3) | instskip(SKIP_3) | instid1(VALU_DEP_2)
	v_or_b32_e32 v10, v14, v10
	s_wait_alu 0xfffd
	v_cndmask_b32_e64 v4, 0, 1, vcc_lo
	v_cmp_gt_i32_e32 vcc_lo, 1, v9
	v_or_b32_e32 v4, v15, v4
	s_wait_alu 0xfffd
	v_cndmask_b32_e32 v10, v12, v10, vcc_lo
	v_cmp_gt_i32_e32 vcc_lo, 1, v11
	s_delay_alu instid0(VALU_DEP_2)
	v_and_b32_e32 v12, 7, v10
	s_wait_alu 0xfffd
	v_cndmask_b32_e32 v4, v13, v4, vcc_lo
	v_cmp_ne_u32_e32 vcc_lo, 0, v2
	v_lshrrev_b32_e32 v10, 2, v10
	v_cmp_eq_u32_e64 s0, 3, v12
	s_delay_alu instid0(VALU_DEP_4)
	v_and_b32_e32 v13, 7, v4
	s_wait_alu 0xfffd
	v_cndmask_b32_e64 v2, 0, 1, vcc_lo
	v_cmp_ne_u32_e32 vcc_lo, 0, v7
	v_lshrrev_b32_e32 v4, 2, v4
	v_cmp_lt_i32_e64 s1, 5, v13
	v_cmp_eq_u32_e64 s2, 3, v13
	s_wait_alu 0xfffd
	v_cndmask_b32_e64 v7, 0, 1, vcc_lo
	v_cmp_lt_i32_e32 vcc_lo, 5, v12
	v_lshl_or_b32 v2, v2, 9, 0x7c00
	s_delay_alu instid0(VALU_DEP_3)
	v_lshl_or_b32 v7, v7, 9, 0x7c00
	s_or_b32 vcc_lo, s0, vcc_lo
	s_wait_alu 0xfffe
	v_add_co_ci_u32_e32 v10, vcc_lo, 0, v10, vcc_lo
	s_or_b32 vcc_lo, s2, s1
	s_wait_alu 0xfffe
	v_add_co_ci_u32_e32 v4, vcc_lo, 0, v4, vcc_lo
	v_cmp_gt_i32_e32 vcc_lo, 31, v9
	s_wait_alu 0xfffd
	v_cndmask_b32_e32 v10, 0x7c00, v10, vcc_lo
	v_cmp_gt_i32_e32 vcc_lo, 31, v11
	s_wait_alu 0xfffd
	v_cndmask_b32_e32 v4, 0x7c00, v4, vcc_lo
	v_cmp_eq_u32_e32 vcc_lo, 0x40f, v9
	s_wait_alu 0xfffd
	v_cndmask_b32_e32 v2, v10, v2, vcc_lo
	v_cmp_eq_u32_e32 vcc_lo, 0x40f, v11
	s_delay_alu instid0(VALU_DEP_2)
	v_and_or_b32 v2, 0x8000, v5, v2
	s_wait_alu 0xfffd
	v_cndmask_b32_e32 v4, v4, v7, vcc_lo
	v_add_co_u32 v0, vcc_lo, v0, s6
	s_wait_alu 0xfffd
	v_add_co_ci_u32_e32 v1, vcc_lo, s7, v1, vcc_lo
	s_delay_alu instid0(VALU_DEP_3) | instskip(SKIP_1) | instid1(VALU_DEP_1)
	v_and_or_b32 v4, 0x8000, v8, v4
	v_and_b32_e32 v2, 0xffff, v2
	v_lshl_or_b32 v2, v4, 16, v2
	v_lshrrev_b32_e32 v4, 16, v3
	global_store_b32 v[0:1], v2, off
	global_load_b32 v2, v[56:57], off offset:4260
	s_wait_loadcnt 0x0
	v_lshrrev_b32_e32 v5, 16, v2
	s_delay_alu instid0(VALU_DEP_1) | instskip(SKIP_1) | instid1(VALU_DEP_2)
	v_mul_f16_e32 v7, v4, v5
	v_mul_f16_e32 v5, v3, v5
	v_fmac_f16_e32 v7, v3, v2
	s_delay_alu instid0(VALU_DEP_2) | instskip(NEXT) | instid1(VALU_DEP_2)
	v_fma_f16 v2, v2, v4, -v5
	v_cvt_f32_f16_e32 v3, v7
	s_delay_alu instid0(VALU_DEP_2) | instskip(NEXT) | instid1(VALU_DEP_2)
	v_cvt_f32_f16_e32 v4, v2
	v_cvt_f64_f32_e32 v[2:3], v3
	s_delay_alu instid0(VALU_DEP_2) | instskip(NEXT) | instid1(VALU_DEP_2)
	v_cvt_f64_f32_e32 v[4:5], v4
	v_mul_f64_e32 v[2:3], s[8:9], v[2:3]
	s_delay_alu instid0(VALU_DEP_2) | instskip(NEXT) | instid1(VALU_DEP_2)
	v_mul_f64_e32 v[4:5], s[8:9], v[4:5]
	v_and_or_b32 v2, 0x1ff, v3, v2
	s_delay_alu instid0(VALU_DEP_2)
	v_and_or_b32 v4, 0x1ff, v5, v4
	v_lshrrev_b32_e32 v7, 8, v3
	v_bfe_u32 v8, v3, 20, 11
	v_lshrrev_b32_e32 v9, 8, v5
	v_cmp_ne_u32_e32 vcc_lo, 0, v2
	v_bfe_u32 v10, v5, 20, 11
	v_lshrrev_b32_e32 v3, 16, v3
	v_sub_nc_u32_e32 v11, 0x3f1, v8
	v_add_nc_u32_e32 v8, 0xfffffc10, v8
	s_wait_alu 0xfffd
	v_cndmask_b32_e64 v2, 0, 1, vcc_lo
	v_cmp_ne_u32_e32 vcc_lo, 0, v4
	v_lshrrev_b32_e32 v5, 16, v5
	s_delay_alu instid0(VALU_DEP_3) | instskip(SKIP_4) | instid1(VALU_DEP_3)
	v_and_or_b32 v2, 0xffe, v7, v2
	s_wait_alu 0xfffd
	v_cndmask_b32_e64 v4, 0, 1, vcc_lo
	v_sub_nc_u32_e32 v7, 0x3f1, v10
	v_add_nc_u32_e32 v10, 0xfffffc10, v10
	v_and_or_b32 v4, 0xffe, v9, v4
	v_med3_i32 v9, v11, 0, 13
	v_or_b32_e32 v11, 0x1000, v2
	v_med3_i32 v7, v7, 0, 13
	s_delay_alu instid0(VALU_DEP_4) | instskip(NEXT) | instid1(VALU_DEP_3)
	v_or_b32_e32 v12, 0x1000, v4
	v_lshrrev_b32_e32 v13, v9, v11
	s_delay_alu instid0(VALU_DEP_2) | instskip(NEXT) | instid1(VALU_DEP_2)
	v_lshrrev_b32_e32 v14, v7, v12
	v_lshlrev_b32_e32 v9, v9, v13
	s_delay_alu instid0(VALU_DEP_2) | instskip(NEXT) | instid1(VALU_DEP_2)
	v_lshlrev_b32_e32 v7, v7, v14
	v_cmp_ne_u32_e32 vcc_lo, v9, v11
	v_lshl_or_b32 v11, v8, 12, v2
	s_wait_alu 0xfffd
	v_cndmask_b32_e64 v9, 0, 1, vcc_lo
	v_cmp_ne_u32_e32 vcc_lo, v7, v12
	v_lshl_or_b32 v12, v10, 12, v4
	s_delay_alu instid0(VALU_DEP_3) | instskip(SKIP_3) | instid1(VALU_DEP_2)
	v_or_b32_e32 v9, v13, v9
	s_wait_alu 0xfffd
	v_cndmask_b32_e64 v7, 0, 1, vcc_lo
	v_cmp_gt_i32_e32 vcc_lo, 1, v8
	v_or_b32_e32 v7, v14, v7
	s_wait_alu 0xfffd
	v_cndmask_b32_e32 v9, v11, v9, vcc_lo
	v_cmp_gt_i32_e32 vcc_lo, 1, v10
	s_delay_alu instid0(VALU_DEP_2)
	v_and_b32_e32 v11, 7, v9
	s_wait_alu 0xfffd
	v_cndmask_b32_e32 v7, v12, v7, vcc_lo
	v_cmp_ne_u32_e32 vcc_lo, 0, v2
	v_lshrrev_b32_e32 v9, 2, v9
	v_cmp_eq_u32_e64 s0, 3, v11
	s_delay_alu instid0(VALU_DEP_4)
	v_and_b32_e32 v12, 7, v7
	s_wait_alu 0xfffd
	v_cndmask_b32_e64 v2, 0, 1, vcc_lo
	v_cmp_ne_u32_e32 vcc_lo, 0, v4
	v_lshrrev_b32_e32 v7, 2, v7
	v_cmp_lt_i32_e64 s1, 5, v12
	v_cmp_eq_u32_e64 s2, 3, v12
	s_wait_alu 0xfffd
	v_cndmask_b32_e64 v4, 0, 1, vcc_lo
	v_cmp_lt_i32_e32 vcc_lo, 5, v11
	v_lshl_or_b32 v2, v2, 9, 0x7c00
	s_delay_alu instid0(VALU_DEP_3)
	v_lshl_or_b32 v4, v4, 9, 0x7c00
	s_or_b32 vcc_lo, s0, vcc_lo
	s_wait_alu 0xfffe
	v_add_co_ci_u32_e32 v9, vcc_lo, 0, v9, vcc_lo
	s_or_b32 vcc_lo, s2, s1
	s_wait_alu 0xfffe
	v_add_co_ci_u32_e32 v7, vcc_lo, 0, v7, vcc_lo
	v_cmp_gt_i32_e32 vcc_lo, 31, v8
	s_wait_alu 0xfffd
	v_cndmask_b32_e32 v9, 0x7c00, v9, vcc_lo
	v_cmp_gt_i32_e32 vcc_lo, 31, v10
	s_wait_alu 0xfffd
	v_cndmask_b32_e32 v7, 0x7c00, v7, vcc_lo
	v_cmp_eq_u32_e32 vcc_lo, 0x40f, v8
	s_wait_alu 0xfffd
	v_cndmask_b32_e32 v2, v9, v2, vcc_lo
	v_cmp_eq_u32_e32 vcc_lo, 0x40f, v10
	s_delay_alu instid0(VALU_DEP_2)
	v_and_or_b32 v2, 0x8000, v3, v2
	s_wait_alu 0xfffd
	v_cndmask_b32_e32 v4, v7, v4, vcc_lo
	v_add_co_u32 v0, vcc_lo, v0, s6
	s_wait_alu 0xfffd
	v_add_co_ci_u32_e32 v1, vcc_lo, s7, v1, vcc_lo
	s_delay_alu instid0(VALU_DEP_3) | instskip(SKIP_1) | instid1(VALU_DEP_1)
	v_and_or_b32 v3, 0x8000, v5, v4
	v_and_b32_e32 v2, 0xffff, v2
	v_lshl_or_b32 v2, v3, 16, v2
	global_store_b32 v[0:1], v2, off
	global_load_b32 v4, v[56:57], off offset:4760
	ds_load_2addr_b32 v[2:3], v6 offset0:38 offset1:163
	s_wait_dscnt 0x0
	v_lshrrev_b32_e32 v5, 16, v2
	s_wait_loadcnt 0x0
	v_lshrrev_b32_e32 v6, 16, v4
	s_delay_alu instid0(VALU_DEP_1) | instskip(SKIP_1) | instid1(VALU_DEP_2)
	v_mul_f16_e32 v7, v5, v6
	v_mul_f16_e32 v6, v2, v6
	v_fmac_f16_e32 v7, v2, v4
	s_delay_alu instid0(VALU_DEP_2) | instskip(NEXT) | instid1(VALU_DEP_2)
	v_fma_f16 v2, v4, v5, -v6
	v_cvt_f32_f16_e32 v4, v7
	s_delay_alu instid0(VALU_DEP_2) | instskip(NEXT) | instid1(VALU_DEP_2)
	v_cvt_f32_f16_e32 v2, v2
	v_cvt_f64_f32_e32 v[4:5], v4
	s_delay_alu instid0(VALU_DEP_2) | instskip(NEXT) | instid1(VALU_DEP_2)
	v_cvt_f64_f32_e32 v[6:7], v2
	v_mul_f64_e32 v[4:5], s[8:9], v[4:5]
	s_delay_alu instid0(VALU_DEP_2) | instskip(NEXT) | instid1(VALU_DEP_2)
	v_mul_f64_e32 v[6:7], s[8:9], v[6:7]
	v_and_or_b32 v2, 0x1ff, v5, v4
	s_delay_alu instid0(VALU_DEP_2)
	v_and_or_b32 v6, 0x1ff, v7, v6
	v_lshrrev_b32_e32 v4, 8, v5
	v_bfe_u32 v8, v5, 20, 11
	v_lshrrev_b32_e32 v9, 8, v7
	v_cmp_ne_u32_e32 vcc_lo, 0, v2
	v_bfe_u32 v10, v7, 20, 11
	v_lshrrev_b32_e32 v5, 16, v5
	v_sub_nc_u32_e32 v11, 0x3f1, v8
	v_add_nc_u32_e32 v8, 0xfffffc10, v8
	s_wait_alu 0xfffd
	v_cndmask_b32_e64 v2, 0, 1, vcc_lo
	v_cmp_ne_u32_e32 vcc_lo, 0, v6
	v_lshrrev_b32_e32 v7, 16, v7
	s_delay_alu instid0(VALU_DEP_3) | instskip(SKIP_4) | instid1(VALU_DEP_3)
	v_and_or_b32 v2, 0xffe, v4, v2
	s_wait_alu 0xfffd
	v_cndmask_b32_e64 v6, 0, 1, vcc_lo
	v_sub_nc_u32_e32 v4, 0x3f1, v10
	v_add_nc_u32_e32 v10, 0xfffffc10, v10
	v_and_or_b32 v6, 0xffe, v9, v6
	v_med3_i32 v9, v11, 0, 13
	v_or_b32_e32 v11, 0x1000, v2
	v_med3_i32 v4, v4, 0, 13
	s_delay_alu instid0(VALU_DEP_4) | instskip(NEXT) | instid1(VALU_DEP_3)
	v_or_b32_e32 v12, 0x1000, v6
	v_lshrrev_b32_e32 v13, v9, v11
	s_delay_alu instid0(VALU_DEP_2) | instskip(NEXT) | instid1(VALU_DEP_2)
	v_lshrrev_b32_e32 v14, v4, v12
	v_lshlrev_b32_e32 v9, v9, v13
	s_delay_alu instid0(VALU_DEP_2) | instskip(NEXT) | instid1(VALU_DEP_2)
	v_lshlrev_b32_e32 v4, v4, v14
	v_cmp_ne_u32_e32 vcc_lo, v9, v11
	v_lshl_or_b32 v11, v8, 12, v2
	s_wait_alu 0xfffd
	v_cndmask_b32_e64 v9, 0, 1, vcc_lo
	v_cmp_ne_u32_e32 vcc_lo, v4, v12
	v_lshl_or_b32 v12, v10, 12, v6
	s_delay_alu instid0(VALU_DEP_3) | instskip(SKIP_3) | instid1(VALU_DEP_2)
	v_or_b32_e32 v9, v13, v9
	s_wait_alu 0xfffd
	v_cndmask_b32_e64 v4, 0, 1, vcc_lo
	v_cmp_gt_i32_e32 vcc_lo, 1, v8
	v_or_b32_e32 v4, v14, v4
	s_wait_alu 0xfffd
	v_cndmask_b32_e32 v9, v11, v9, vcc_lo
	v_cmp_gt_i32_e32 vcc_lo, 1, v10
	s_wait_alu 0xfffd
	s_delay_alu instid0(VALU_DEP_2) | instskip(SKIP_2) | instid1(VALU_DEP_3)
	v_dual_cndmask_b32 v4, v12, v4 :: v_dual_and_b32 v11, 7, v9
	v_cmp_ne_u32_e32 vcc_lo, 0, v2
	v_lshrrev_b32_e32 v9, 2, v9
	v_cmp_eq_u32_e64 s0, 3, v11
	s_delay_alu instid0(VALU_DEP_4)
	v_and_b32_e32 v12, 7, v4
	s_wait_alu 0xfffd
	v_cndmask_b32_e64 v2, 0, 1, vcc_lo
	v_cmp_ne_u32_e32 vcc_lo, 0, v6
	v_lshrrev_b32_e32 v4, 2, v4
	v_cmp_lt_i32_e64 s1, 5, v12
	v_cmp_eq_u32_e64 s2, 3, v12
	s_wait_alu 0xfffd
	v_cndmask_b32_e64 v6, 0, 1, vcc_lo
	v_cmp_lt_i32_e32 vcc_lo, 5, v11
	v_lshl_or_b32 v2, v2, 9, 0x7c00
	s_delay_alu instid0(VALU_DEP_3)
	v_lshl_or_b32 v6, v6, 9, 0x7c00
	s_or_b32 vcc_lo, s0, vcc_lo
	s_wait_alu 0xfffe
	v_add_co_ci_u32_e32 v9, vcc_lo, 0, v9, vcc_lo
	s_or_b32 vcc_lo, s2, s1
	s_wait_alu 0xfffe
	v_add_co_ci_u32_e32 v4, vcc_lo, 0, v4, vcc_lo
	v_cmp_gt_i32_e32 vcc_lo, 31, v8
	s_wait_alu 0xfffd
	v_cndmask_b32_e32 v9, 0x7c00, v9, vcc_lo
	v_cmp_gt_i32_e32 vcc_lo, 31, v10
	s_wait_alu 0xfffd
	v_cndmask_b32_e32 v4, 0x7c00, v4, vcc_lo
	v_cmp_eq_u32_e32 vcc_lo, 0x40f, v8
	s_wait_alu 0xfffd
	v_cndmask_b32_e32 v2, v9, v2, vcc_lo
	v_cmp_eq_u32_e32 vcc_lo, 0x40f, v10
	s_delay_alu instid0(VALU_DEP_2)
	v_and_or_b32 v2, 0x8000, v5, v2
	s_wait_alu 0xfffd
	v_cndmask_b32_e32 v4, v4, v6, vcc_lo
	v_add_co_u32 v0, vcc_lo, v0, s6
	s_wait_alu 0xfffd
	v_add_co_ci_u32_e32 v1, vcc_lo, s7, v1, vcc_lo
	s_delay_alu instid0(VALU_DEP_3) | instskip(SKIP_1) | instid1(VALU_DEP_1)
	v_and_or_b32 v4, 0x8000, v7, v4
	v_and_b32_e32 v2, 0xffff, v2
	v_lshl_or_b32 v2, v4, 16, v2
	v_lshrrev_b32_e32 v4, 16, v3
	global_store_b32 v[0:1], v2, off
	global_load_b32 v2, v[56:57], off offset:5260
	s_wait_loadcnt 0x0
	v_lshrrev_b32_e32 v5, 16, v2
	s_delay_alu instid0(VALU_DEP_1) | instskip(SKIP_1) | instid1(VALU_DEP_2)
	v_mul_f16_e32 v6, v4, v5
	v_mul_f16_e32 v5, v3, v5
	v_fmac_f16_e32 v6, v3, v2
	s_delay_alu instid0(VALU_DEP_2) | instskip(NEXT) | instid1(VALU_DEP_2)
	v_fma_f16 v2, v2, v4, -v5
	v_cvt_f32_f16_e32 v3, v6
	s_delay_alu instid0(VALU_DEP_2) | instskip(NEXT) | instid1(VALU_DEP_2)
	v_cvt_f32_f16_e32 v4, v2
	v_cvt_f64_f32_e32 v[2:3], v3
	s_delay_alu instid0(VALU_DEP_2) | instskip(NEXT) | instid1(VALU_DEP_2)
	v_cvt_f64_f32_e32 v[4:5], v4
	v_mul_f64_e32 v[2:3], s[8:9], v[2:3]
	s_delay_alu instid0(VALU_DEP_2) | instskip(NEXT) | instid1(VALU_DEP_2)
	v_mul_f64_e32 v[4:5], s[8:9], v[4:5]
	v_and_or_b32 v2, 0x1ff, v3, v2
	s_delay_alu instid0(VALU_DEP_2)
	v_and_or_b32 v4, 0x1ff, v5, v4
	v_lshrrev_b32_e32 v6, 8, v3
	v_bfe_u32 v7, v3, 20, 11
	v_lshrrev_b32_e32 v8, 8, v5
	v_cmp_ne_u32_e32 vcc_lo, 0, v2
	v_bfe_u32 v9, v5, 20, 11
	v_lshrrev_b32_e32 v3, 16, v3
	v_sub_nc_u32_e32 v10, 0x3f1, v7
	v_add_nc_u32_e32 v7, 0xfffffc10, v7
	s_wait_alu 0xfffd
	v_cndmask_b32_e64 v2, 0, 1, vcc_lo
	v_cmp_ne_u32_e32 vcc_lo, 0, v4
	v_lshrrev_b32_e32 v5, 16, v5
	s_delay_alu instid0(VALU_DEP_3) | instskip(SKIP_4) | instid1(VALU_DEP_3)
	v_and_or_b32 v2, 0xffe, v6, v2
	s_wait_alu 0xfffd
	v_cndmask_b32_e64 v4, 0, 1, vcc_lo
	v_sub_nc_u32_e32 v6, 0x3f1, v9
	v_add_nc_u32_e32 v9, 0xfffffc10, v9
	v_and_or_b32 v4, 0xffe, v8, v4
	v_med3_i32 v8, v10, 0, 13
	v_or_b32_e32 v10, 0x1000, v2
	v_med3_i32 v6, v6, 0, 13
	s_delay_alu instid0(VALU_DEP_4) | instskip(NEXT) | instid1(VALU_DEP_3)
	v_or_b32_e32 v11, 0x1000, v4
	v_lshrrev_b32_e32 v12, v8, v10
	s_delay_alu instid0(VALU_DEP_2) | instskip(NEXT) | instid1(VALU_DEP_2)
	v_lshrrev_b32_e32 v13, v6, v11
	v_lshlrev_b32_e32 v8, v8, v12
	s_delay_alu instid0(VALU_DEP_2) | instskip(NEXT) | instid1(VALU_DEP_2)
	v_lshlrev_b32_e32 v6, v6, v13
	v_cmp_ne_u32_e32 vcc_lo, v8, v10
	v_lshl_or_b32 v10, v7, 12, v2
	s_wait_alu 0xfffd
	v_cndmask_b32_e64 v8, 0, 1, vcc_lo
	v_cmp_ne_u32_e32 vcc_lo, v6, v11
	v_lshl_or_b32 v11, v9, 12, v4
	s_delay_alu instid0(VALU_DEP_3) | instskip(SKIP_3) | instid1(VALU_DEP_2)
	v_or_b32_e32 v8, v12, v8
	s_wait_alu 0xfffd
	v_cndmask_b32_e64 v6, 0, 1, vcc_lo
	v_cmp_gt_i32_e32 vcc_lo, 1, v7
	v_or_b32_e32 v6, v13, v6
	s_wait_alu 0xfffd
	v_cndmask_b32_e32 v8, v10, v8, vcc_lo
	v_cmp_gt_i32_e32 vcc_lo, 1, v9
	s_delay_alu instid0(VALU_DEP_2)
	v_and_b32_e32 v10, 7, v8
	s_wait_alu 0xfffd
	v_cndmask_b32_e32 v6, v11, v6, vcc_lo
	v_cmp_ne_u32_e32 vcc_lo, 0, v2
	v_lshrrev_b32_e32 v8, 2, v8
	v_cmp_eq_u32_e64 s0, 3, v10
	s_delay_alu instid0(VALU_DEP_4)
	v_and_b32_e32 v11, 7, v6
	s_wait_alu 0xfffd
	v_cndmask_b32_e64 v2, 0, 1, vcc_lo
	v_cmp_ne_u32_e32 vcc_lo, 0, v4
	v_lshrrev_b32_e32 v6, 2, v6
	v_cmp_lt_i32_e64 s1, 5, v11
	v_cmp_eq_u32_e64 s2, 3, v11
	s_wait_alu 0xfffd
	v_cndmask_b32_e64 v4, 0, 1, vcc_lo
	v_cmp_lt_i32_e32 vcc_lo, 5, v10
	v_lshl_or_b32 v2, v2, 9, 0x7c00
	s_delay_alu instid0(VALU_DEP_3)
	v_lshl_or_b32 v4, v4, 9, 0x7c00
	s_or_b32 vcc_lo, s0, vcc_lo
	s_wait_alu 0xfffe
	v_add_co_ci_u32_e32 v8, vcc_lo, 0, v8, vcc_lo
	s_or_b32 vcc_lo, s2, s1
	s_wait_alu 0xfffe
	v_add_co_ci_u32_e32 v6, vcc_lo, 0, v6, vcc_lo
	v_cmp_gt_i32_e32 vcc_lo, 31, v7
	s_wait_alu 0xfffd
	v_cndmask_b32_e32 v8, 0x7c00, v8, vcc_lo
	v_cmp_gt_i32_e32 vcc_lo, 31, v9
	s_wait_alu 0xfffd
	v_cndmask_b32_e32 v6, 0x7c00, v6, vcc_lo
	v_cmp_eq_u32_e32 vcc_lo, 0x40f, v7
	s_wait_alu 0xfffd
	v_cndmask_b32_e32 v2, v8, v2, vcc_lo
	v_cmp_eq_u32_e32 vcc_lo, 0x40f, v9
	s_delay_alu instid0(VALU_DEP_2)
	v_and_or_b32 v2, 0x8000, v3, v2
	s_wait_alu 0xfffd
	v_cndmask_b32_e32 v4, v6, v4, vcc_lo
	v_add_co_u32 v0, vcc_lo, v0, s6
	s_wait_alu 0xfffd
	v_add_co_ci_u32_e32 v1, vcc_lo, s7, v1, vcc_lo
	s_delay_alu instid0(VALU_DEP_3) | instskip(SKIP_1) | instid1(VALU_DEP_1)
	v_and_or_b32 v3, 0x8000, v5, v4
	v_and_b32_e32 v2, 0xffff, v2
	v_lshl_or_b32 v2, v3, 16, v2
	global_store_b32 v[0:1], v2, off
	global_load_b32 v4, v[56:57], off offset:5760
	v_add_nc_u32_e32 v2, 0x1600, v83
	ds_load_2addr_b32 v[2:3], v2 offset0:32 offset1:157
	s_wait_dscnt 0x0
	v_lshrrev_b32_e32 v5, 16, v2
	s_wait_loadcnt 0x0
	v_lshrrev_b32_e32 v6, 16, v4
	s_delay_alu instid0(VALU_DEP_1) | instskip(SKIP_1) | instid1(VALU_DEP_2)
	v_mul_f16_e32 v7, v5, v6
	v_mul_f16_e32 v6, v2, v6
	v_fmac_f16_e32 v7, v2, v4
	s_delay_alu instid0(VALU_DEP_2) | instskip(NEXT) | instid1(VALU_DEP_2)
	v_fma_f16 v2, v4, v5, -v6
	v_cvt_f32_f16_e32 v4, v7
	s_delay_alu instid0(VALU_DEP_2) | instskip(NEXT) | instid1(VALU_DEP_2)
	v_cvt_f32_f16_e32 v2, v2
	v_cvt_f64_f32_e32 v[4:5], v4
	s_delay_alu instid0(VALU_DEP_2) | instskip(NEXT) | instid1(VALU_DEP_2)
	v_cvt_f64_f32_e32 v[6:7], v2
	v_mul_f64_e32 v[4:5], s[8:9], v[4:5]
	s_delay_alu instid0(VALU_DEP_2) | instskip(NEXT) | instid1(VALU_DEP_2)
	v_mul_f64_e32 v[6:7], s[8:9], v[6:7]
	v_and_or_b32 v2, 0x1ff, v5, v4
	s_delay_alu instid0(VALU_DEP_2)
	v_and_or_b32 v6, 0x1ff, v7, v6
	v_lshrrev_b32_e32 v4, 8, v5
	v_bfe_u32 v8, v5, 20, 11
	v_lshrrev_b32_e32 v9, 8, v7
	v_cmp_ne_u32_e32 vcc_lo, 0, v2
	v_bfe_u32 v10, v7, 20, 11
	v_lshrrev_b32_e32 v5, 16, v5
	v_sub_nc_u32_e32 v11, 0x3f1, v8
	v_add_nc_u32_e32 v8, 0xfffffc10, v8
	s_wait_alu 0xfffd
	v_cndmask_b32_e64 v2, 0, 1, vcc_lo
	v_cmp_ne_u32_e32 vcc_lo, 0, v6
	v_lshrrev_b32_e32 v7, 16, v7
	s_delay_alu instid0(VALU_DEP_3) | instskip(SKIP_4) | instid1(VALU_DEP_3)
	v_and_or_b32 v2, 0xffe, v4, v2
	s_wait_alu 0xfffd
	v_cndmask_b32_e64 v6, 0, 1, vcc_lo
	v_sub_nc_u32_e32 v4, 0x3f1, v10
	v_add_nc_u32_e32 v10, 0xfffffc10, v10
	v_and_or_b32 v6, 0xffe, v9, v6
	v_med3_i32 v9, v11, 0, 13
	v_or_b32_e32 v11, 0x1000, v2
	v_med3_i32 v4, v4, 0, 13
	s_delay_alu instid0(VALU_DEP_4) | instskip(NEXT) | instid1(VALU_DEP_3)
	v_or_b32_e32 v12, 0x1000, v6
	v_lshrrev_b32_e32 v13, v9, v11
	s_delay_alu instid0(VALU_DEP_2) | instskip(NEXT) | instid1(VALU_DEP_2)
	v_lshrrev_b32_e32 v14, v4, v12
	v_lshlrev_b32_e32 v9, v9, v13
	s_delay_alu instid0(VALU_DEP_2) | instskip(NEXT) | instid1(VALU_DEP_2)
	v_lshlrev_b32_e32 v4, v4, v14
	v_cmp_ne_u32_e32 vcc_lo, v9, v11
	v_lshl_or_b32 v11, v8, 12, v2
	s_wait_alu 0xfffd
	v_cndmask_b32_e64 v9, 0, 1, vcc_lo
	v_cmp_ne_u32_e32 vcc_lo, v4, v12
	v_lshl_or_b32 v12, v10, 12, v6
	s_delay_alu instid0(VALU_DEP_3) | instskip(SKIP_3) | instid1(VALU_DEP_2)
	v_or_b32_e32 v9, v13, v9
	s_wait_alu 0xfffd
	v_cndmask_b32_e64 v4, 0, 1, vcc_lo
	v_cmp_gt_i32_e32 vcc_lo, 1, v8
	v_or_b32_e32 v4, v14, v4
	s_wait_alu 0xfffd
	v_cndmask_b32_e32 v9, v11, v9, vcc_lo
	v_cmp_gt_i32_e32 vcc_lo, 1, v10
	s_wait_alu 0xfffd
	v_cndmask_b32_e32 v4, v12, v4, vcc_lo
	v_cmp_ne_u32_e32 vcc_lo, 0, v2
	s_delay_alu instid0(VALU_DEP_2)
	v_and_b32_e32 v12, 7, v4
	s_wait_alu 0xfffd
	v_cndmask_b32_e64 v2, 0, 1, vcc_lo
	v_cmp_ne_u32_e32 vcc_lo, 0, v6
	v_lshrrev_b32_e32 v4, 2, v4
	v_cmp_lt_i32_e64 s1, 5, v12
	s_delay_alu instid0(VALU_DEP_4)
	v_lshl_or_b32 v2, v2, 9, 0x7c00
	v_and_b32_e32 v11, 7, v9
	s_wait_alu 0xfffd
	v_cndmask_b32_e64 v6, 0, 1, vcc_lo
	v_lshrrev_b32_e32 v9, 2, v9
	v_cmp_eq_u32_e64 s2, 3, v12
	v_cmp_lt_i32_e32 vcc_lo, 5, v11
	v_cmp_eq_u32_e64 s0, 3, v11
	v_lshl_or_b32 v6, v6, 9, 0x7c00
	s_delay_alu instid0(VALU_DEP_2)
	s_or_b32 vcc_lo, s0, vcc_lo
	s_wait_alu 0xfffe
	v_add_co_ci_u32_e32 v9, vcc_lo, 0, v9, vcc_lo
	s_or_b32 vcc_lo, s2, s1
	s_wait_alu 0xfffe
	v_add_co_ci_u32_e32 v4, vcc_lo, 0, v4, vcc_lo
	v_cmp_gt_i32_e32 vcc_lo, 31, v8
	s_wait_alu 0xfffd
	v_cndmask_b32_e32 v9, 0x7c00, v9, vcc_lo
	v_cmp_gt_i32_e32 vcc_lo, 31, v10
	s_wait_alu 0xfffd
	v_cndmask_b32_e32 v4, 0x7c00, v4, vcc_lo
	v_cmp_eq_u32_e32 vcc_lo, 0x40f, v8
	s_wait_alu 0xfffd
	v_cndmask_b32_e32 v2, v9, v2, vcc_lo
	v_cmp_eq_u32_e32 vcc_lo, 0x40f, v10
	s_delay_alu instid0(VALU_DEP_2)
	v_and_or_b32 v2, 0x8000, v5, v2
	s_wait_alu 0xfffd
	v_cndmask_b32_e32 v4, v4, v6, vcc_lo
	v_add_co_u32 v0, vcc_lo, v0, s6
	s_wait_alu 0xfffd
	v_add_co_ci_u32_e32 v1, vcc_lo, s7, v1, vcc_lo
	s_delay_alu instid0(VALU_DEP_3) | instskip(SKIP_1) | instid1(VALU_DEP_1)
	v_and_or_b32 v4, 0x8000, v7, v4
	v_and_b32_e32 v2, 0xffff, v2
	v_lshl_or_b32 v2, v4, 16, v2
	v_lshrrev_b32_e32 v4, 16, v3
	global_store_b32 v[0:1], v2, off
	global_load_b32 v2, v[56:57], off offset:6260
	s_wait_loadcnt 0x0
	v_lshrrev_b32_e32 v5, 16, v2
	s_delay_alu instid0(VALU_DEP_1) | instskip(SKIP_1) | instid1(VALU_DEP_2)
	v_mul_f16_e32 v6, v4, v5
	v_mul_f16_e32 v5, v3, v5
	v_fmac_f16_e32 v6, v3, v2
	s_delay_alu instid0(VALU_DEP_2) | instskip(NEXT) | instid1(VALU_DEP_2)
	v_fma_f16 v2, v2, v4, -v5
	v_cvt_f32_f16_e32 v3, v6
	s_delay_alu instid0(VALU_DEP_2) | instskip(NEXT) | instid1(VALU_DEP_2)
	v_cvt_f32_f16_e32 v4, v2
	v_cvt_f64_f32_e32 v[2:3], v3
	s_delay_alu instid0(VALU_DEP_2) | instskip(NEXT) | instid1(VALU_DEP_2)
	v_cvt_f64_f32_e32 v[4:5], v4
	v_mul_f64_e32 v[2:3], s[8:9], v[2:3]
	s_delay_alu instid0(VALU_DEP_2) | instskip(NEXT) | instid1(VALU_DEP_2)
	v_mul_f64_e32 v[4:5], s[8:9], v[4:5]
	v_and_or_b32 v2, 0x1ff, v3, v2
	s_delay_alu instid0(VALU_DEP_2)
	v_and_or_b32 v4, 0x1ff, v5, v4
	v_lshrrev_b32_e32 v6, 8, v3
	v_bfe_u32 v7, v3, 20, 11
	v_lshrrev_b32_e32 v8, 8, v5
	v_cmp_ne_u32_e32 vcc_lo, 0, v2
	v_bfe_u32 v9, v5, 20, 11
	v_lshrrev_b32_e32 v3, 16, v3
	v_sub_nc_u32_e32 v10, 0x3f1, v7
	v_add_nc_u32_e32 v7, 0xfffffc10, v7
	s_wait_alu 0xfffd
	v_cndmask_b32_e64 v2, 0, 1, vcc_lo
	v_cmp_ne_u32_e32 vcc_lo, 0, v4
	v_lshrrev_b32_e32 v5, 16, v5
	s_delay_alu instid0(VALU_DEP_3) | instskip(SKIP_3) | instid1(VALU_DEP_2)
	v_and_or_b32 v2, 0xffe, v6, v2
	s_wait_alu 0xfffd
	v_cndmask_b32_e64 v4, 0, 1, vcc_lo
	v_sub_nc_u32_e32 v6, 0x3f1, v9
	v_and_or_b32 v4, 0xffe, v8, v4
	v_med3_i32 v8, v10, 0, 13
	v_or_b32_e32 v10, 0x1000, v2
	s_delay_alu instid0(VALU_DEP_4) | instskip(NEXT) | instid1(VALU_DEP_4)
	v_med3_i32 v6, v6, 0, 13
	v_or_b32_e32 v11, 0x1000, v4
	s_delay_alu instid0(VALU_DEP_3) | instskip(NEXT) | instid1(VALU_DEP_2)
	v_lshrrev_b32_e32 v12, v8, v10
	v_lshrrev_b32_e32 v13, v6, v11
	s_delay_alu instid0(VALU_DEP_2) | instskip(NEXT) | instid1(VALU_DEP_2)
	v_lshlrev_b32_e32 v8, v8, v12
	v_lshlrev_b32_e32 v6, v6, v13
	s_delay_alu instid0(VALU_DEP_2) | instskip(SKIP_4) | instid1(VALU_DEP_2)
	v_cmp_ne_u32_e32 vcc_lo, v8, v10
	v_lshl_or_b32 v10, v7, 12, v2
	s_wait_alu 0xfffd
	v_cndmask_b32_e64 v8, 0, 1, vcc_lo
	v_cmp_ne_u32_e32 vcc_lo, v6, v11
	v_or_b32_e32 v8, v12, v8
	s_wait_alu 0xfffd
	v_cndmask_b32_e64 v6, 0, 1, vcc_lo
	v_cmp_gt_i32_e32 vcc_lo, 1, v7
	v_add_nc_u32_e32 v9, 0xfffffc10, v9
	s_delay_alu instid0(VALU_DEP_3) | instskip(SKIP_2) | instid1(VALU_DEP_3)
	v_or_b32_e32 v6, v13, v6
	s_wait_alu 0xfffd
	v_cndmask_b32_e32 v8, v10, v8, vcc_lo
	v_lshl_or_b32 v11, v9, 12, v4
	v_cmp_gt_i32_e32 vcc_lo, 1, v9
	s_delay_alu instid0(VALU_DEP_3)
	v_and_b32_e32 v10, 7, v8
	v_lshrrev_b32_e32 v8, 2, v8
	s_wait_alu 0xfffd
	v_cndmask_b32_e32 v6, v11, v6, vcc_lo
	v_cmp_ne_u32_e32 vcc_lo, 0, v2
	v_cmp_eq_u32_e64 s0, 3, v10
	s_wait_alu 0xfffd
	v_cndmask_b32_e64 v2, 0, 1, vcc_lo
	v_cmp_ne_u32_e32 vcc_lo, 0, v4
	s_delay_alu instid0(VALU_DEP_2) | instskip(SKIP_3) | instid1(VALU_DEP_2)
	v_lshl_or_b32 v2, v2, 9, 0x7c00
	s_wait_alu 0xfffd
	v_cndmask_b32_e64 v4, 0, 1, vcc_lo
	v_cmp_lt_i32_e32 vcc_lo, 5, v10
	v_lshl_or_b32 v4, v4, 9, 0x7c00
	s_or_b32 vcc_lo, s0, vcc_lo
	s_wait_alu 0xfffe
	v_add_co_ci_u32_e32 v8, vcc_lo, 0, v8, vcc_lo
	v_and_b32_e32 v11, 7, v6
	v_lshrrev_b32_e32 v6, 2, v6
	s_delay_alu instid0(VALU_DEP_2) | instskip(SKIP_1) | instid1(VALU_DEP_1)
	v_cmp_lt_i32_e64 s1, 5, v11
	v_cmp_eq_u32_e64 s2, 3, v11
	s_or_b32 vcc_lo, s2, s1
	s_wait_alu 0xfffe
	v_add_co_ci_u32_e32 v6, vcc_lo, 0, v6, vcc_lo
	v_cmp_gt_i32_e32 vcc_lo, 31, v7
	s_wait_alu 0xfffd
	v_cndmask_b32_e32 v8, 0x7c00, v8, vcc_lo
	v_cmp_gt_i32_e32 vcc_lo, 31, v9
	s_wait_alu 0xfffd
	v_cndmask_b32_e32 v6, 0x7c00, v6, vcc_lo
	v_cmp_eq_u32_e32 vcc_lo, 0x40f, v7
	s_wait_alu 0xfffd
	v_cndmask_b32_e32 v2, v8, v2, vcc_lo
	v_cmp_eq_u32_e32 vcc_lo, 0x40f, v9
	s_delay_alu instid0(VALU_DEP_2)
	v_and_or_b32 v2, 0x8000, v3, v2
	s_wait_alu 0xfffd
	v_cndmask_b32_e32 v4, v6, v4, vcc_lo
	v_add_co_u32 v0, vcc_lo, v0, s6
	s_wait_alu 0xfffd
	v_add_co_ci_u32_e32 v1, vcc_lo, s7, v1, vcc_lo
	s_delay_alu instid0(VALU_DEP_3) | instskip(SKIP_1) | instid1(VALU_DEP_1)
	v_and_or_b32 v3, 0x8000, v5, v4
	v_and_b32_e32 v2, 0xffff, v2
	v_lshl_or_b32 v2, v3, 16, v2
	global_store_b32 v[0:1], v2, off
.LBB0_15:
	s_nop 0
	s_sendmsg sendmsg(MSG_DEALLOC_VGPRS)
	s_endpgm
	.section	.rodata,"a",@progbits
	.p2align	6, 0x0
	.amdhsa_kernel bluestein_single_back_len1625_dim1_half_op_CI_CI
		.amdhsa_group_segment_fixed_size 13000
		.amdhsa_private_segment_fixed_size 40
		.amdhsa_kernarg_size 104
		.amdhsa_user_sgpr_count 2
		.amdhsa_user_sgpr_dispatch_ptr 0
		.amdhsa_user_sgpr_queue_ptr 0
		.amdhsa_user_sgpr_kernarg_segment_ptr 1
		.amdhsa_user_sgpr_dispatch_id 0
		.amdhsa_user_sgpr_private_segment_size 0
		.amdhsa_wavefront_size32 1
		.amdhsa_uses_dynamic_stack 0
		.amdhsa_enable_private_segment 1
		.amdhsa_system_sgpr_workgroup_id_x 1
		.amdhsa_system_sgpr_workgroup_id_y 0
		.amdhsa_system_sgpr_workgroup_id_z 0
		.amdhsa_system_sgpr_workgroup_info 0
		.amdhsa_system_vgpr_workitem_id 0
		.amdhsa_next_free_vgpr 256
		.amdhsa_next_free_sgpr 16
		.amdhsa_reserve_vcc 1
		.amdhsa_float_round_mode_32 0
		.amdhsa_float_round_mode_16_64 0
		.amdhsa_float_denorm_mode_32 3
		.amdhsa_float_denorm_mode_16_64 3
		.amdhsa_fp16_overflow 0
		.amdhsa_workgroup_processor_mode 1
		.amdhsa_memory_ordered 1
		.amdhsa_forward_progress 0
		.amdhsa_round_robin_scheduling 0
		.amdhsa_exception_fp_ieee_invalid_op 0
		.amdhsa_exception_fp_denorm_src 0
		.amdhsa_exception_fp_ieee_div_zero 0
		.amdhsa_exception_fp_ieee_overflow 0
		.amdhsa_exception_fp_ieee_underflow 0
		.amdhsa_exception_fp_ieee_inexact 0
		.amdhsa_exception_int_div_zero 0
	.end_amdhsa_kernel
	.text
.Lfunc_end0:
	.size	bluestein_single_back_len1625_dim1_half_op_CI_CI, .Lfunc_end0-bluestein_single_back_len1625_dim1_half_op_CI_CI
                                        ; -- End function
	.section	.AMDGPU.csdata,"",@progbits
; Kernel info:
; codeLenInByte = 59792
; NumSgprs: 18
; NumVgprs: 256
; ScratchSize: 40
; MemoryBound: 0
; FloatMode: 240
; IeeeMode: 1
; LDSByteSize: 13000 bytes/workgroup (compile time only)
; SGPRBlocks: 2
; VGPRBlocks: 31
; NumSGPRsForWavesPerEU: 18
; NumVGPRsForWavesPerEU: 256
; Occupancy: 5
; WaveLimiterHint : 1
; COMPUTE_PGM_RSRC2:SCRATCH_EN: 1
; COMPUTE_PGM_RSRC2:USER_SGPR: 2
; COMPUTE_PGM_RSRC2:TRAP_HANDLER: 0
; COMPUTE_PGM_RSRC2:TGID_X_EN: 1
; COMPUTE_PGM_RSRC2:TGID_Y_EN: 0
; COMPUTE_PGM_RSRC2:TGID_Z_EN: 0
; COMPUTE_PGM_RSRC2:TIDIG_COMP_CNT: 0
	.text
	.p2alignl 7, 3214868480
	.fill 96, 4, 3214868480
	.type	__hip_cuid_10d46a1aa69f1fc4,@object ; @__hip_cuid_10d46a1aa69f1fc4
	.section	.bss,"aw",@nobits
	.globl	__hip_cuid_10d46a1aa69f1fc4
__hip_cuid_10d46a1aa69f1fc4:
	.byte	0                               ; 0x0
	.size	__hip_cuid_10d46a1aa69f1fc4, 1

	.ident	"AMD clang version 19.0.0git (https://github.com/RadeonOpenCompute/llvm-project roc-6.4.0 25133 c7fe45cf4b819c5991fe208aaa96edf142730f1d)"
	.section	".note.GNU-stack","",@progbits
	.addrsig
	.addrsig_sym __hip_cuid_10d46a1aa69f1fc4
	.amdgpu_metadata
---
amdhsa.kernels:
  - .args:
      - .actual_access:  read_only
        .address_space:  global
        .offset:         0
        .size:           8
        .value_kind:     global_buffer
      - .actual_access:  read_only
        .address_space:  global
        .offset:         8
        .size:           8
        .value_kind:     global_buffer
      - .actual_access:  read_only
        .address_space:  global
        .offset:         16
        .size:           8
        .value_kind:     global_buffer
      - .actual_access:  read_only
        .address_space:  global
        .offset:         24
        .size:           8
        .value_kind:     global_buffer
      - .actual_access:  read_only
        .address_space:  global
        .offset:         32
        .size:           8
        .value_kind:     global_buffer
      - .offset:         40
        .size:           8
        .value_kind:     by_value
      - .address_space:  global
        .offset:         48
        .size:           8
        .value_kind:     global_buffer
      - .address_space:  global
        .offset:         56
        .size:           8
        .value_kind:     global_buffer
      - .address_space:  global
        .offset:         64
        .size:           8
        .value_kind:     global_buffer
      - .address_space:  global
        .offset:         72
        .size:           8
        .value_kind:     global_buffer
      - .offset:         80
        .size:           4
        .value_kind:     by_value
      - .address_space:  global
        .offset:         88
        .size:           8
        .value_kind:     global_buffer
      - .address_space:  global
        .offset:         96
        .size:           8
        .value_kind:     global_buffer
    .group_segment_fixed_size: 13000
    .kernarg_segment_align: 8
    .kernarg_segment_size: 104
    .language:       OpenCL C
    .language_version:
      - 2
      - 0
    .max_flat_workgroup_size: 130
    .name:           bluestein_single_back_len1625_dim1_half_op_CI_CI
    .private_segment_fixed_size: 40
    .sgpr_count:     18
    .sgpr_spill_count: 0
    .symbol:         bluestein_single_back_len1625_dim1_half_op_CI_CI.kd
    .uniform_work_group_size: 1
    .uses_dynamic_stack: false
    .vgpr_count:     256
    .vgpr_spill_count: 9
    .wavefront_size: 32
    .workgroup_processor_mode: 1
amdhsa.target:   amdgcn-amd-amdhsa--gfx1201
amdhsa.version:
  - 1
  - 2
...

	.end_amdgpu_metadata
